;; amdgpu-corpus repo=ggml-org/llama.cpp kind=compiled arch=gfx1250 opt=O3
	.amdgcn_target "amdgcn-amd-amdhsa--gfx1250"
	.amdhsa_code_object_version 6
	.section	.text._ZL15flash_attn_tileILi192ELi128ELi2ELi16ELb0EEvPKcS1_S1_S1_S1_PKiPfP15HIP_vector_typeIfLj2EEffffjfiS5_IjLj3EEiiiiiiiiiiiliiliiiiil,"axG",@progbits,_ZL15flash_attn_tileILi192ELi128ELi2ELi16ELb0EEvPKcS1_S1_S1_S1_PKiPfP15HIP_vector_typeIfLj2EEffffjfiS5_IjLj3EEiiiiiiiiiiiliiliiiiil,comdat
	.globl	_ZL15flash_attn_tileILi192ELi128ELi2ELi16ELb0EEvPKcS1_S1_S1_S1_PKiPfP15HIP_vector_typeIfLj2EEffffjfiS5_IjLj3EEiiiiiiiiiiiliiliiiiil ; -- Begin function _ZL15flash_attn_tileILi192ELi128ELi2ELi16ELb0EEvPKcS1_S1_S1_S1_PKiPfP15HIP_vector_typeIfLj2EEffffjfiS5_IjLj3EEiiiiiiiiiiiliiliiiiil
	.p2align	8
	.type	_ZL15flash_attn_tileILi192ELi128ELi2ELi16ELb0EEvPKcS1_S1_S1_S1_PKiPfP15HIP_vector_typeIfLj2EEffffjfiS5_IjLj3EEiiiiiiiiiiiliiliiiiil,@function
_ZL15flash_attn_tileILi192ELi128ELi2ELi16ELb0EEvPKcS1_S1_S1_S1_PKiPfP15HIP_vector_typeIfLj2EEffffjfiS5_IjLj3EEiiiiiiiiiiiliiliiiiil: ; @_ZL15flash_attn_tileILi192ELi128ELi2ELi16ELb0EEvPKcS1_S1_S1_S1_PKiPfP15HIP_vector_typeIfLj2EEffffjfiS5_IjLj3EEiiiiiiiiiiiliiliiiiil
; %bb.0:
	s_clause 0x1
	s_load_b128 s[20:23], s[0:1], 0x5c
	s_load_b64 s[30:31], s[0:1], 0x80
	s_bfe_u32 s5, ttmp6, 0x40014
	s_lshr_b32 s4, ttmp7, 16
	s_add_co_i32 s5, s5, 1
	s_bfe_u32 s6, ttmp6, 0x40008
	s_mul_i32 s5, s4, s5
	s_getreg_b32 s24, hwreg(HW_REG_IB_STS2, 6, 4)
	s_add_co_i32 s6, s6, s5
	s_load_b64 s[36:37], s[0:1], 0xb8
	s_mov_b64 s[34:35], 0
	s_wait_kmcnt 0x0
	s_ashr_i32 s2, s23, 31
	s_delay_alu instid0(SALU_CYCLE_1) | instskip(NEXT) | instid1(SALU_CYCLE_1)
	s_lshr_b32 s2, s2, 28
	s_add_co_i32 s2, s23, s2
	s_delay_alu instid0(SALU_CYCLE_1) | instskip(NEXT) | instid1(SALU_CYCLE_1)
	s_ashr_i32 s2, s2, 4
	s_cvt_f32_u32 s3, s2
	s_sub_co_i32 s7, 0, s2
	s_delay_alu instid0(SALU_CYCLE_2) | instskip(SKIP_1) | instid1(TRANS32_DEP_1)
	v_rcp_iflag_f32_e32 v1, s3
	v_nop
	v_readfirstlane_b32 s3, v1
	s_mul_f32 s3, s3, 0x4f7ffffe
	s_delay_alu instid0(SALU_CYCLE_3) | instskip(NEXT) | instid1(SALU_CYCLE_3)
	s_cvt_u32_f32 s3, s3
	s_mul_i32 s7, s7, s3
	s_delay_alu instid0(SALU_CYCLE_1) | instskip(NEXT) | instid1(SALU_CYCLE_1)
	s_mul_hi_u32 s7, s3, s7
	s_add_co_i32 s3, s3, s7
	s_cmp_eq_u32 s24, 0
	s_cselect_b32 s4, s4, s6
	s_delay_alu instid0(SALU_CYCLE_1) | instskip(NEXT) | instid1(SALU_CYCLE_1)
	s_mul_hi_u32 s3, s4, s3
	s_mul_i32 s5, s3, s2
	s_add_co_i32 s6, s3, 1
	s_sub_co_i32 s5, s4, s5
	s_delay_alu instid0(SALU_CYCLE_1)
	s_sub_co_i32 s7, s5, s2
	s_cmp_ge_u32 s5, s2
	s_cselect_b32 s3, s6, s3
	s_cselect_b32 s5, s7, s5
	s_add_co_i32 s6, s3, 1
	s_cmp_ge_u32 s5, s2
	s_cselect_b32 s28, s6, s3
	s_abs_i32 s2, s31
	s_abs_i32 s7, s23
	s_cvt_f32_u32 s3, s2
	s_sub_co_i32 s5, 0, s2
	s_lshl_b32 s4, s4, 4
	s_mul_i32 s6, s28, s23
	v_rcp_iflag_f32_e32 v1, s3
	s_sub_co_i32 s33, s4, s6
	s_xor_b32 s4, s23, s31
	s_delay_alu instid0(SALU_CYCLE_1) | instskip(SKIP_1) | instid1(TRANS32_DEP_1)
	s_ashr_i32 s25, s4, 31
	v_nop
	v_readfirstlane_b32 s3, v1
	s_mul_f32 s3, s3, 0x4f7ffffe
	s_delay_alu instid0(SALU_CYCLE_3) | instskip(NEXT) | instid1(SALU_CYCLE_3)
	s_cvt_u32_f32 s3, s3
	s_mul_i32 s5, s5, s3
	s_delay_alu instid0(SALU_CYCLE_1) | instskip(NEXT) | instid1(SALU_CYCLE_1)
	s_mul_hi_u32 s5, s3, s5
	s_add_co_i32 s3, s3, s5
	s_delay_alu instid0(SALU_CYCLE_1) | instskip(NEXT) | instid1(SALU_CYCLE_1)
	s_mul_hi_u32 s3, s7, s3
	s_mul_i32 s5, s3, s2
	s_delay_alu instid0(SALU_CYCLE_1)
	s_sub_co_i32 s4, s7, s5
	s_add_co_i32 s5, s3, 1
	s_sub_co_i32 s6, s4, s2
	s_cmp_ge_u32 s4, s2
	s_cselect_b32 s3, s5, s3
	s_cselect_b32 s4, s6, s4
	s_add_co_i32 s5, s3, 1
	s_cmp_ge_u32 s4, s2
	s_cselect_b32 s2, s5, s3
	s_load_b512 s[4:19], s[0:1], 0x0
	s_xor_b32 s2, s2, s25
	s_mov_b32 s3, 0
	s_sub_co_i32 s29, s2, s25
	s_delay_alu instid0(SALU_CYCLE_1) | instskip(NEXT) | instid1(SALU_CYCLE_1)
	s_abs_i32 s38, s29
	s_cvt_f32_u32 s2, s38
	s_delay_alu instid0(SALU_CYCLE_3) | instskip(SKIP_1) | instid1(TRANS32_DEP_1)
	v_rcp_iflag_f32_e32 v1, s2
	v_nop
	v_readfirstlane_b32 s2, v1
	s_wait_kmcnt 0x0
	s_cmp_eq_u64 s[10:11], 0
	s_cbranch_scc1 .LBB0_2
; %bb.1:
	s_abs_i32 s25, s36
	s_abs_i32 s31, s28
	s_cvt_f32_u32 s26, s25
	s_sub_co_i32 s27, 0, s25
	s_delay_alu instid0(SALU_CYCLE_2) | instskip(SKIP_1) | instid1(TRANS32_DEP_1)
	v_rcp_iflag_f32_e32 v1, s26
	v_nop
	v_readfirstlane_b32 s26, v1
	s_mul_f32 s26, s26, 0x4f7ffffe
	s_delay_alu instid0(SALU_CYCLE_3) | instskip(NEXT) | instid1(SALU_CYCLE_3)
	s_cvt_u32_f32 s26, s26
	s_mul_i32 s27, s27, s26
	s_delay_alu instid0(SALU_CYCLE_1) | instskip(NEXT) | instid1(SALU_CYCLE_1)
	s_mul_hi_u32 s27, s26, s27
	s_add_co_i32 s26, s26, s27
	s_delay_alu instid0(SALU_CYCLE_1) | instskip(SKIP_2) | instid1(SALU_CYCLE_1)
	s_mul_hi_u32 s34, s31, s26
	s_load_b64 s[26:27], s[0:1], 0xc8
	s_mul_i32 s34, s34, s25
	s_sub_co_i32 s31, s31, s34
	s_ashr_i32 s34, s28, 31
	s_sub_co_i32 s35, s31, s25
	s_cmp_ge_u32 s31, s25
	s_cselect_b32 s31, s35, s31
	s_delay_alu instid0(SALU_CYCLE_1) | instskip(SKIP_2) | instid1(SALU_CYCLE_1)
	s_sub_co_i32 s35, s31, s25
	s_cmp_ge_u32 s31, s25
	s_cselect_b32 s25, s35, s31
	s_xor_b32 s25, s25, s34
	s_delay_alu instid0(SALU_CYCLE_1) | instskip(NEXT) | instid1(SALU_CYCLE_1)
	s_sub_co_i32 s34, s25, s34
	s_ashr_i32 s35, s34, 31
	s_wait_kmcnt 0x0
	s_mul_u64 s[26:27], s[26:27], s[34:35]
	s_delay_alu instid0(SALU_CYCLE_1)
	s_add_nc_u64 s[34:35], s[10:11], s[26:27]
.LBB0_2:
	s_bfe_u32 s10, ttmp6, 0x4000c
	v_dual_lshrrev_b32 v1, 10, v0 :: v_dual_mov_b32 v3, 0
	s_add_co_i32 s10, s10, 1
	s_and_b32 s11, ttmp6, 15
	s_mul_i32 s10, ttmp9, s10
	s_delay_alu instid0(VALU_DEP_1)
	v_bfe_u32 v1, v1, 2, 8
	s_add_co_i32 s11, s11, s10
	s_cmp_eq_u32 s24, 0
	v_bfe_u32 v8, v0, 10, 10
	s_cselect_b32 s25, ttmp9, s11
	s_load_b96 s[40:42], s[0:1], 0x70
	v_lshl_add_u32 v38, s25, 1, v1
	s_delay_alu instid0(VALU_DEP_2) | instskip(SKIP_1) | instid1(VALU_DEP_3)
	v_dual_mov_b32 v13, v3 :: v_dual_lshlrev_b32 v10, 2, v8
	v_mul_u32_u24_e32 v40, 0x600, v8
	v_mul_hi_u32 v1, s20, v38
	s_delay_alu instid0(VALU_DEP_1) | instskip(SKIP_3) | instid1(VALU_DEP_1)
	v_dual_add_nc_u32 v1, v38, v1 :: v_dual_bitop2_b32 v12, 12, v10 bitop3:0x40
	s_wait_kmcnt 0x0
	s_mul_i32 s20, s33, s41
	s_ashr_i32 s11, s41, 31
	v_lshrrev_b32_e32 v1, s21, v1
	s_mov_b32 s10, s41
	s_ashr_i32 s41, s40, 31
	s_lshr_b64 s[10:11], s[10:11], 2
	s_lshr_b64 s[26:27], s[40:41], 2
	v_mul_lo_u32 v1, v1, s22
	s_ashr_i32 s21, s20, 31
	v_mul_u64_e32 v[6:7], s[10:11], v[12:13]
	v_and_b32_e32 v13, 0x3ff, v0
	s_delay_alu instid0(VALU_DEP_1) | instskip(SKIP_2) | instid1(VALU_DEP_1)
	v_lshlrev_b32_e32 v0, 4, v13
	v_cmp_gt_u32_e32 vcc_lo, 16, v13
	v_dual_mov_b32 v1, v3 :: v_dual_sub_nc_u32 v2, v38, v1
	v_mul_u64_e32 v[4:5], s[26:27], v[2:3]
	s_mul_i32 s26, s28, s42
	s_delay_alu instid0(SALU_CYCLE_1) | instskip(NEXT) | instid1(SALU_CYCLE_1)
	s_ashr_i32 s27, s26, 31
	s_add_nc_u64 s[4:5], s[4:5], s[26:27]
	s_delay_alu instid0(SALU_CYCLE_1)
	s_add_nc_u64 s[4:5], s[4:5], s[20:21]
	s_delay_alu instid0(VALU_DEP_1) | instid1(SALU_CYCLE_1)
	v_lshl_add_u64 v[4:5], v[4:5], 2, s[4:5]
	s_load_b32 s4, s[0:1], 0x40
	s_delay_alu instid0(VALU_DEP_1) | instskip(NEXT) | instid1(VALU_DEP_1)
	v_add_nc_u64_e32 v[0:1], v[4:5], v[0:1]
	v_lshl_add_u64 v[4:5], v[6:7], 2, v[0:1]
	global_load_b128 v[14:17], v[4:5], off
	s_wait_kmcnt 0x0
	s_mov_b32 s5, s4
	s_wait_loadcnt 0x0
	v_fma_mixlo_f16 v9, s4, v14, 0
	v_mov_b32_e32 v14, v17
	s_delay_alu instid0(VALU_DEP_2) | instskip(SKIP_1) | instid1(VALU_DEP_3)
	v_and_b32_e32 v11, 0xffff, v9
	v_lshlrev_b32_e32 v9, 3, v13
	v_pk_mul_f32 v[6:7], s[4:5], v[14:15] op_sel_hi:[0,1]
	s_delay_alu instid0(VALU_DEP_1) | instskip(SKIP_1) | instid1(VALU_DEP_2)
	v_cvt_pk_f16_f32 v6, v6, v7
	v_fma_mixlo_f16 v7, s4, v16, 0
	v_and_b32_e32 v14, 0xffff0000, v6
	s_delay_alu instid0(VALU_DEP_2) | instskip(NEXT) | instid1(VALU_DEP_2)
	v_and_b32_e32 v7, 0xffff, v7
	v_dual_lshlrev_b32 v6, 16, v6 :: v_dual_bitop2_b32 v11, v14, v11 bitop3:0x54
	v_mad_u32_u24 v14, 0x600, v8, v9
	s_delay_alu instid0(VALU_DEP_2) | instskip(NEXT) | instid1(VALU_DEP_3)
	v_or3_b32 v7, v6, v7, 0
	v_or3_b32 v6, 0, 0, v11
	ds_store_b64 v14, v[6:7]
	s_and_saveexec_b32 s20, vcc_lo
	s_cbranch_execz .LBB0_4
; %bb.3:
	global_load_b128 v[4:7], v[4:5], off offset:512
	v_mov_b64_e32 v[14:15], s[4:5]
	s_wait_loadcnt 0x0
	v_fma_mixlo_f16 v11, s4, v4, 0
	v_mov_b32_e32 v4, v7
	s_delay_alu instid0(VALU_DEP_1) | instskip(NEXT) | instid1(VALU_DEP_1)
	v_pk_mul_f32 v[4:5], v[14:15], v[4:5]
	v_cvt_pk_f16_f32 v4, v4, v5
	v_fma_mixlo_f16 v5, s4, v6, 0
	v_and_b32_e32 v6, 0xffff, v11
	s_delay_alu instid0(VALU_DEP_3) | instskip(NEXT) | instid1(VALU_DEP_3)
	v_and_b32_e32 v7, 0xffff0000, v4
	v_and_b32_e32 v5, 0xffff, v5
	s_delay_alu instid0(VALU_DEP_2) | instskip(NEXT) | instid1(VALU_DEP_1)
	v_dual_lshlrev_b32 v4, 16, v4 :: v_dual_bitop2_b32 v6, v7, v6 bitop3:0x54
	v_or3_b32 v5, v4, v5, 0
	s_delay_alu instid0(VALU_DEP_2)
	v_or3_b32 v4, 0, 0, v6
	v_add_nc_u32_e32 v6, v9, v40
	ds_store_b64 v6, v[4:5] offset:256
.LBB0_4:
	s_or_b32 exec_lo, exec_lo, s20
	v_bitop3_b32 v4, v10, 13, 1 bitop3:0xc8
	v_mov_b32_e32 v5, v3
	v_mov_b64_e32 v[6:7], s[4:5]
	s_delay_alu instid0(VALU_DEP_2) | instskip(NEXT) | instid1(VALU_DEP_1)
	v_mul_u64_e32 v[4:5], s[10:11], v[4:5]
	v_lshl_add_u64 v[4:5], v[4:5], 2, v[0:1]
	global_load_b128 v[14:17], v[4:5], off
	s_wait_loadcnt 0x0
	v_fma_mixlo_f16 v3, s4, v14, 0
	v_mov_b32_e32 v14, v17
	s_delay_alu instid0(VALU_DEP_2) | instskip(NEXT) | instid1(VALU_DEP_2)
	v_and_b32_e32 v3, 0xffff, v3
	v_pk_mul_f32 v[6:7], v[6:7], v[14:15]
	v_or_b32_e32 v14, 1, v10
	s_delay_alu instid0(VALU_DEP_2) | instskip(SKIP_1) | instid1(VALU_DEP_2)
	v_cvt_pk_f16_f32 v6, v6, v7
	v_fma_mixlo_f16 v7, s4, v16, 0
	v_and_b32_e32 v11, 0xffff0000, v6
	s_delay_alu instid0(VALU_DEP_2) | instskip(NEXT) | instid1(VALU_DEP_2)
	v_and_b32_e32 v7, 0xffff, v7
	v_dual_lshlrev_b32 v6, 16, v6 :: v_dual_bitop2_b32 v3, v11, v3 bitop3:0x54
	v_mul_u32_u24_e32 v11, 0x180, v14
	s_delay_alu instid0(VALU_DEP_2) | instskip(NEXT) | instid1(VALU_DEP_3)
	v_or3_b32 v7, v6, v7, 0
	v_or3_b32 v6, 0, 0, v3
	s_delay_alu instid0(VALU_DEP_3)
	v_add_nc_u32_e32 v3, v9, v11
	v_mad_u32_u24 v14, 0x180, v14, v9
	ds_store_b64 v14, v[6:7]
	s_and_saveexec_b32 s20, vcc_lo
	s_cbranch_execz .LBB0_6
; %bb.5:
	global_load_b128 v[4:7], v[4:5], off offset:512
	v_mov_b64_e32 v[14:15], s[4:5]
	s_wait_loadcnt 0x0
	v_fma_mixlo_f16 v11, s4, v4, 0
	v_mov_b32_e32 v4, v7
	s_delay_alu instid0(VALU_DEP_1) | instskip(NEXT) | instid1(VALU_DEP_1)
	v_pk_mul_f32 v[4:5], v[14:15], v[4:5]
	v_cvt_pk_f16_f32 v4, v4, v5
	v_fma_mixlo_f16 v5, s4, v6, 0
	v_and_b32_e32 v6, 0xffff, v11
	s_delay_alu instid0(VALU_DEP_3) | instskip(NEXT) | instid1(VALU_DEP_3)
	v_and_b32_e32 v7, 0xffff0000, v4
	v_and_b32_e32 v5, 0xffff, v5
	s_delay_alu instid0(VALU_DEP_2) | instskip(NEXT) | instid1(VALU_DEP_1)
	v_dual_lshlrev_b32 v4, 16, v4 :: v_dual_bitop2_b32 v6, v7, v6 bitop3:0x54
	v_or3_b32 v5, v4, v5, 0
	s_delay_alu instid0(VALU_DEP_2)
	v_or3_b32 v4, 0, 0, v6
	ds_store_b64 v3, v[4:5] offset:256
.LBB0_6:
	s_or_b32 exec_lo, exec_lo, s20
	v_bitop3_b32 v4, v10, 14, 2 bitop3:0xc8
	v_mov_b32_e32 v5, 0
	v_mov_b64_e32 v[18:19], s[4:5]
	s_delay_alu instid0(VALU_DEP_2) | instskip(NEXT) | instid1(VALU_DEP_1)
	v_mul_u64_e32 v[6:7], s[10:11], v[4:5]
	v_lshl_add_u64 v[6:7], v[6:7], 2, v[0:1]
	global_load_b128 v[14:17], v[6:7], off
	s_wait_loadcnt 0x0
	v_fma_mixlo_f16 v4, s4, v14, 0
	v_mov_b32_e32 v14, v17
	s_delay_alu instid0(VALU_DEP_2) | instskip(NEXT) | instid1(VALU_DEP_2)
	v_and_b32_e32 v4, 0xffff, v4
	v_pk_mul_f32 v[14:15], v[18:19], v[14:15]
	s_delay_alu instid0(VALU_DEP_1) | instskip(SKIP_1) | instid1(VALU_DEP_2)
	v_cvt_pk_f16_f32 v11, v14, v15
	v_fma_mixlo_f16 v14, s4, v16, 0
	v_and_b32_e32 v15, 0xffff0000, v11
	s_delay_alu instid0(VALU_DEP_2) | instskip(NEXT) | instid1(VALU_DEP_2)
	v_and_b32_e32 v14, 0xffff, v14
	v_dual_lshlrev_b32 v11, 16, v11 :: v_dual_bitop2_b32 v4, v15, v4 bitop3:0x54
	s_delay_alu instid0(VALU_DEP_1) | instskip(NEXT) | instid1(VALU_DEP_2)
	v_or3_b32 v15, v11, v14, 0
	v_or3_b32 v14, 0, 0, v4
	ds_store_b64 v3, v[14:15] offset:384
	s_and_saveexec_b32 s20, vcc_lo
	s_cbranch_execz .LBB0_8
; %bb.7:
	global_load_b128 v[14:17], v[6:7], off offset:512
	s_wait_xcnt 0x0
	v_mov_b64_e32 v[6:7], s[4:5]
	s_wait_loadcnt 0x0
	v_fma_mixlo_f16 v4, s4, v14, 0
	v_mov_b32_e32 v14, v17
	s_delay_alu instid0(VALU_DEP_2) | instskip(NEXT) | instid1(VALU_DEP_2)
	v_and_b32_e32 v4, 0xffff, v4
	v_pk_mul_f32 v[6:7], v[6:7], v[14:15]
	s_delay_alu instid0(VALU_DEP_1) | instskip(SKIP_1) | instid1(VALU_DEP_2)
	v_cvt_pk_f16_f32 v6, v6, v7
	v_fma_mixlo_f16 v7, s4, v16, 0
	v_and_b32_e32 v11, 0xffff0000, v6
	s_delay_alu instid0(VALU_DEP_2) | instskip(NEXT) | instid1(VALU_DEP_2)
	v_and_b32_e32 v7, 0xffff, v7
	v_dual_lshlrev_b32 v6, 16, v6 :: v_dual_bitop2_b32 v4, v11, v4 bitop3:0x54
	s_delay_alu instid0(VALU_DEP_1) | instskip(NEXT) | instid1(VALU_DEP_2)
	v_or3_b32 v7, v6, v7, 0
	v_or3_b32 v6, 0, 0, v4
	ds_store_b64 v3, v[6:7] offset:640
.LBB0_8:
	s_or_b32 exec_lo, exec_lo, s20
	v_bitop3_b32 v4, v10, 15, 3 bitop3:0xc8
	v_mov_b64_e32 v[14:15], s[4:5]
	s_delay_alu instid0(VALU_DEP_2) | instskip(NEXT) | instid1(VALU_DEP_1)
	v_mul_u64_e32 v[4:5], s[10:11], v[4:5]
	v_lshl_add_u64 v[0:1], v[4:5], 2, v[0:1]
	global_load_b128 v[4:7], v[0:1], off
	s_wait_loadcnt 0x0
	v_fma_mixlo_f16 v11, s4, v4, 0
	v_mov_b32_e32 v4, v7
	s_delay_alu instid0(VALU_DEP_1) | instskip(NEXT) | instid1(VALU_DEP_1)
	v_pk_mul_f32 v[4:5], v[14:15], v[4:5]
	v_cvt_pk_f16_f32 v4, v4, v5
	v_fma_mixlo_f16 v5, s4, v6, 0
	v_and_b32_e32 v6, 0xffff, v11
	s_delay_alu instid0(VALU_DEP_3) | instskip(NEXT) | instid1(VALU_DEP_3)
	v_and_b32_e32 v7, 0xffff0000, v4
	v_and_b32_e32 v5, 0xffff, v5
	s_delay_alu instid0(VALU_DEP_2) | instskip(NEXT) | instid1(VALU_DEP_1)
	v_dual_lshlrev_b32 v4, 16, v4 :: v_dual_bitop2_b32 v6, v7, v6 bitop3:0x54
	v_or3_b32 v5, v4, v5, 0
	s_delay_alu instid0(VALU_DEP_2)
	v_or3_b32 v4, 0, 0, v6
	ds_store_b64 v3, v[4:5] offset:768
	s_and_saveexec_b32 s10, vcc_lo
	s_cbranch_execz .LBB0_10
; %bb.9:
	global_load_b128 v[4:7], v[0:1], off offset:512
	s_wait_xcnt 0x0
	v_mov_b64_e32 v[0:1], s[4:5]
	s_wait_loadcnt 0x0
	v_fma_mixlo_f16 v11, s4, v4, 0
	v_mov_b32_e32 v4, v7
	s_delay_alu instid0(VALU_DEP_1) | instskip(NEXT) | instid1(VALU_DEP_3)
	v_pk_mul_f32 v[0:1], v[0:1], v[4:5]
	v_and_b32_e32 v4, 0xffff, v11
	s_delay_alu instid0(VALU_DEP_2) | instskip(SKIP_1) | instid1(VALU_DEP_2)
	v_cvt_pk_f16_f32 v0, v0, v1
	v_fma_mixlo_f16 v1, s4, v6, 0
	v_and_b32_e32 v5, 0xffff0000, v0
	s_delay_alu instid0(VALU_DEP_2) | instskip(SKIP_1) | instid1(VALU_DEP_3)
	v_and_b32_e32 v1, 0xffff, v1
	v_lshlrev_b32_e32 v0, 16, v0
	v_or_b32_e32 v4, v5, v4
	s_delay_alu instid0(VALU_DEP_2) | instskip(NEXT) | instid1(VALU_DEP_2)
	v_or3_b32 v1, v0, v1, 0
	v_or3_b32 v0, 0, 0, v4
	ds_store_b64 v3, v[0:1] offset:1024
.LBB0_10:
	s_or_b32 exec_lo, exec_lo, s10
	s_cmp_eq_u64 s[14:15], 0
	s_wait_dscnt 0x0
	s_barrier_signal -1
	s_barrier_wait -1
	s_cbranch_scc1 .LBB0_12
; %bb.11:
	s_load_b32 s4, s[0:1], 0xd0
	s_wait_kmcnt 0x0
	s_mul_i32 s4, s4, s28
	s_delay_alu instid0(SALU_CYCLE_1)
	s_add_co_i32 s4, s4, s25
	s_load_b32 s30, s[14:15], s4 offset:0x0 scale_offset
.LBB0_12:
	s_wait_xcnt 0x0
	s_bfe_u32 s4, ttmp6, 0x40010
	s_and_b32 s5, ttmp7, 0xffff
	s_add_co_i32 s4, s4, 1
	s_bfe_u32 s10, ttmp6, 0x40004
	s_mul_i32 s4, s5, s4
	v_mbcnt_lo_u32_b32 v41, -1, 0
	s_add_co_i32 s10, s10, s4
	s_cmp_eq_u32 s24, 0
	s_mov_b32 s4, 0
	s_cselect_b32 s31, s5, s10
	s_delay_alu instid0(SALU_CYCLE_1)
	s_lshl_b32 s10, s31, 6
	s_wait_kmcnt 0x0
	s_cmp_lt_i32 s10, s30
	s_cbranch_scc1 .LBB0_15
; %bb.13:
	v_mbcnt_lo_u32_b32 v5, -1, 0
	s_delay_alu instid0(VALU_DEP_1)
	v_dual_mov_b32 v4, 32 :: v_dual_bitop2_b32 v46, 16, v5 bitop3:0x14
	v_xor_b32_e32 v45, 8, v5
	v_xor_b32_e32 v44, 4, v5
	;; [unrolled: 1-line block ×4, first 2 shown]
	v_lshlrev_b32_e32 v39, 2, v13
	s_and_not1_b32 vcc_lo, exec_lo, s4
	s_cbranch_vccz .LBB0_16
; %bb.14:
	v_dual_mov_b32 v65, 0 :: v_dual_mov_b32 v15, 0
	v_dual_mov_b32 v3, 0xfeffffff :: v_dual_mov_b32 v2, 0xfeffffff
	;; [unrolled: 1-line block ×3, first 2 shown]
	s_delay_alu instid0(VALU_DEP_3)
	v_dual_mov_b32 v14, v15 :: v_dual_mov_b32 v17, v15
	v_dual_mov_b32 v16, v15 :: v_dual_mov_b32 v66, 0
	;; [unrolled: 1-line block ×5, first 2 shown]
	s_branch .LBB0_19
.LBB0_15:
                                        ; implicit-def: $vgpr5
                                        ; implicit-def: $vgpr4
                                        ; implicit-def: $vgpr46
                                        ; implicit-def: $vgpr45
                                        ; implicit-def: $vgpr44
                                        ; implicit-def: $vgpr43
                                        ; implicit-def: $vgpr42
	v_lshlrev_b32_e32 v39, 2, v13
.LBB0_16:
	s_clause 0x1
	s_load_b64 s[4:5], s[0:1], 0x8c
	s_load_b128 s[24:27], s[0:1], 0x98
	s_mul_f32 s2, s2, 0x4f7ffffe
	s_sub_co_i32 s11, 0, s38
	v_dual_lshrrev_b32 v0, 3, v13 :: v_dual_bitop2_b32 v4, 28, v39 bitop3:0x40
	s_delay_alu instid0(SALU_CYCLE_1) | instskip(SKIP_2) | instid1(VALU_DEP_2)
	s_cvt_u32_f32 s14, s2
	v_lshrrev_b32_e32 v1, 4, v13
	s_abs_i32 s2, s33
	v_add_nc_u32_e32 v0, v0, v10
	s_mul_i32 s11, s11, s14
	s_mov_b32 s15, s3
	s_mul_hi_u32 s11, s14, s11
	v_lshl_add_u32 v1, v8, 1, v1
	s_add_co_i32 s14, s14, s11
	s_ashr_i32 s20, s33, 31
	s_mul_u64 s[14:15], s[2:3], s[14:15]
	s_ashr_i32 s21, s29, 31
	s_mul_i32 s3, s15, s38
	s_load_b64 s[40:41], s[0:1], 0xa8
	s_sub_co_i32 s2, s2, s3
	s_xor_b32 s21, s20, s21
	s_wait_kmcnt 0x0
	s_ashr_i32 s14, s26, 2
	s_ashr_i32 s20, s4, 2
	;; [unrolled: 1-line block ×4, first 2 shown]
	s_add_co_i32 s3, s15, 1
	s_sub_co_i32 s4, s2, s38
	s_cmp_ge_u32 s2, s38
	v_mul_lo_u32 v18, s20, v0
	v_mul_lo_u32 v10, s14, v1
	s_cselect_b32 s3, s3, s15
	s_cselect_b32 s2, s4, s2
	s_add_co_i32 s4, s3, 1
	s_cmp_ge_u32 s2, s38
	v_dual_lshlrev_b32 v3, 2, v4 :: v_dual_mov_b32 v21, 0
	v_and_b32_e32 v6, 60, v39
	s_cselect_b32 s2, s4, s3
	v_mad_u32 v50, v2, s11, v13
	s_xor_b32 s2, s2, s21
	v_mad_u32_u24 v0, 0x90, v0, v3
	s_sub_co_i32 s15, s2, s21
	v_ashrrev_i32_e32 v19, 31, v18
	v_lshlrev_b32_e32 v3, 2, v6
	v_lshl_add_u32 v2, s14, 4, v10
	s_mul_u64 s[2:3], s[24:25], s[28:29]
	s_mul_i32 s4, s15, s5
	s_add_nc_u64 s[2:3], s[6:7], s[2:3]
	s_ashr_i32 s5, s4, 31
	v_dual_mov_b32 v60, v21 :: v_dual_add_nc_u32 v47, 0x3000, v0
	v_dual_mov_b32 v27, v21 :: v_dual_add_nc_u32 v48, 0x4200, v0
	v_lshl_or_b32 v0, v1, 8, v3
	v_dual_ashrrev_i32 v11, 31, v10 :: v_dual_bitop2_b32 v46, 16, v41 bitop3:0x14
	v_dual_ashrrev_i32 v3, 31, v2 :: v_dual_bitop2_b32 v45, 8, v41 bitop3:0x14
	s_mul_u64 s[6:7], s[40:41], s[28:29]
	s_add_nc_u64 s[24:25], s[2:3], s[4:5]
	s_mul_i32 s2, s15, s27
	v_lshl_add_u32 v22, s20, 5, v18
	v_lshl_add_u32 v51, v8, 9, 0x5400
	s_add_nc_u64 s[4:5], s[8:9], s[6:7]
	s_ashr_i32 s3, s2, 31
	v_lshlrev_b64_e32 v[24:25], 2, v[10:11]
	s_add_nc_u64 s[26:27], s[4:5], s[2:3]
	s_movk_i32 s2, 0x3000
	v_lshlrev_b64_e32 v[28:29], 2, v[2:3]
	v_dual_ashrrev_i32 v23, 31, v22 :: v_dual_lshlrev_b32 v20, 2, v4
	v_mad_u32_u24 v49, 0x90, v13, s2
	v_dual_mov_b32 v59, v21 :: v_dual_add_nc_u32 v52, 0x3000, v0
	v_dual_mov_b32 v62, v21 :: v_dual_add_nc_u32 v53, 0x4000, v0
	v_mov_b32_e32 v0, 0xfeffffff
	v_dual_lshlrev_b32 v26, 2, v6 :: v_dual_bitop2_b32 v44, 4, v41 bitop3:0x14
	v_dual_mov_b32 v61, v21 :: v_dual_bitop2_b32 v43, 2, v41 bitop3:0x14
	v_dual_mov_b32 v64, v21 :: v_dual_bitop2_b32 v42, 1, v41 bitop3:0x14
	v_dual_mov_b32 v63, v21 :: v_dual_add_nc_u32 v54, v51, v9
	v_dual_mov_b32 v66, v21 :: v_dual_add_nc_u32 v55, 0x3000, v9
	;; [unrolled: 1-line block ×5, first 2 shown]
	v_dual_mov_b32 v1, 0xfeffffff :: v_dual_mov_b32 v2, 0xfeffffff
	v_dual_mov_b32 v3, 0xfeffffff :: v_dual_mov_b32 v14, v21
	v_mov_b32_e32 v15, v21
	s_ashr_i32 s21, s20, 31
	s_ashr_i32 s15, s14, 31
	s_add_nc_u64 s[36:37], s[0:1], 0xd0
.LBB0_17:                               ; =>This Inner Loop Header: Depth=1
	v_cmp_gt_i32_e32 vcc_lo, 32, v46
	v_dual_mov_b32 v67, v0 :: v_dual_mov_b32 v68, v1
	v_dual_mov_b32 v69, v2 :: v_dual_mov_b32 v70, v3
	v_cndmask_b32_e32 v0, v41, v46, vcc_lo
	v_cmp_gt_i32_e32 vcc_lo, 32, v45
	v_add_nc_u32_e32 v8, s10, v50
	s_ashr_i32 s11, s10, 31
	v_dual_mov_b32 v32, 0 :: v_dual_mov_b32 v33, 0
	v_cndmask_b32_e32 v1, v41, v45, vcc_lo
	v_cmp_gt_i32_e32 vcc_lo, 32, v44
	s_mul_u64 s[2:3], s[10:11], s[20:21]
	v_dual_mov_b32 v34, 0 :: v_dual_mov_b32 v35, 0
	s_lshl_b64 s[2:3], s[2:3], 2
	v_cndmask_b32_e32 v2, v41, v44, vcc_lo
	v_cmp_gt_i32_e32 vcc_lo, 32, v43
	s_add_nc_u64 s[6:7], s[24:25], s[2:3]
	v_dual_lshlrev_b32 v31, 2, v0 :: v_dual_lshlrev_b32 v30, 2, v1
	v_lshl_add_u64 v[0:1], v[18:19], 2, s[6:7]
	v_cndmask_b32_e32 v3, v41, v43, vcc_lo
	v_cmp_gt_i32_e32 vcc_lo, 32, v42
	v_dual_mov_b32 v36, 0 :: v_dual_mov_b32 v37, 0
	s_delay_alu instid0(VALU_DEP_4)
	v_add_nc_u64_e32 v[0:1], v[0:1], v[20:21]
	v_dual_mov_b32 v71, 0 :: v_dual_mov_b32 v72, 0
	v_cndmask_b32_e32 v4, v41, v42, vcc_lo
	v_dual_lshlrev_b32 v11, 2, v2 :: v_dual_lshlrev_b32 v10, 2, v3
	v_lshl_add_u64 v[2:3], v[22:23], 2, s[6:7]
	s_mul_u64 s[4:5], s[10:11], s[14:15]
	s_delay_alu instid0(SALU_CYCLE_1) | instskip(NEXT) | instid1(VALU_DEP_1)
	s_lshl_b64 s[4:5], s[4:5], 2
	v_add_nc_u64_e32 v[2:3], v[2:3], v[20:21]
	s_clause 0x1
	global_load_b128 v[74:77], v[0:1], off
	global_load_b128 v[78:81], v[2:3], off
	s_add_nc_u64 s[2:3], s[26:27], s[4:5]
	s_wait_loadcnt 0x1
	ds_store_b128 v47, v[74:77]
	s_wait_loadcnt 0x0
	ds_store_b128 v48, v[78:81]
	s_wait_dscnt 0x0
	s_barrier_signal -1
	s_barrier_wait -1
	ds_load_b128 v[74:77], v49
	ds_load_b128 v[78:81], v40
	ds_load_b128 v[82:85], v40 offset:384
	ds_load_b128 v[86:89], v40 offset:768
	;; [unrolled: 1-line block ×4, first 2 shown]
	v_add_nc_u64_e32 v[6:7], s[2:3], v[28:29]
	s_wait_dscnt 0x4
	;;#ASMSTART
	v_dot2_f32_f16 v32, v74, v78, v32
	;;#ASMEND
	;;#ASMSTART
	v_dot2_f32_f16 v32, v75, v79, v32
	;;#ASMEND
	;;#ASMSTART
	v_dot2_f32_f16 v32, v76, v80, v32
	;;#ASMEND
	;;#ASMSTART
	v_dot2_f32_f16 v32, v77, v81, v32
	;;#ASMEND
	s_wait_dscnt 0x3
	;;#ASMSTART
	v_dot2_f32_f16 v33, v74, v82, v33
	;;#ASMEND
	;;#ASMSTART
	v_dot2_f32_f16 v33, v75, v83, v33
	;;#ASMEND
	;;#ASMSTART
	v_dot2_f32_f16 v33, v76, v84, v33
	;;#ASMEND
	;;#ASMSTART
	v_dot2_f32_f16 v33, v77, v85, v33
	;;#ASMEND
	;; [unrolled: 13-line block ×5, first 2 shown]
	;;#ASMSTART
	v_dot2_f32_f16 v37, v94, v82, v37
	;;#ASMEND
	;;#ASMSTART
	v_dot2_f32_f16 v37, v95, v83, v37
	;;#ASMEND
	;; [unrolled: 3-line block ×12, first 2 shown]
	ds_load_b128 v[74:77], v49 offset:16
	ds_load_b128 v[78:81], v40 offset:16
	ds_load_b128 v[82:85], v40 offset:400
	ds_load_b128 v[86:89], v40 offset:784
	ds_load_b128 v[90:93], v40 offset:1168
	ds_load_b128 v[94:97], v49 offset:4624
	s_wait_dscnt 0x4
	;;#ASMSTART
	v_dot2_f32_f16 v32, v74, v78, v32
	;;#ASMEND
	;;#ASMSTART
	v_dot2_f32_f16 v32, v75, v79, v32
	;;#ASMEND
	;;#ASMSTART
	v_dot2_f32_f16 v32, v76, v80, v32
	;;#ASMEND
	;;#ASMSTART
	v_dot2_f32_f16 v32, v77, v81, v32
	;;#ASMEND
	s_wait_dscnt 0x3
	;;#ASMSTART
	v_dot2_f32_f16 v33, v74, v82, v33
	;;#ASMEND
	;;#ASMSTART
	v_dot2_f32_f16 v33, v75, v83, v33
	;;#ASMEND
	;;#ASMSTART
	v_dot2_f32_f16 v33, v76, v84, v33
	;;#ASMEND
	;;#ASMSTART
	v_dot2_f32_f16 v33, v77, v85, v33
	;;#ASMEND
	;; [unrolled: 13-line block ×5, first 2 shown]
	;;#ASMSTART
	v_dot2_f32_f16 v37, v94, v82, v37
	;;#ASMEND
	;;#ASMSTART
	v_dot2_f32_f16 v37, v95, v83, v37
	;;#ASMEND
	;; [unrolled: 3-line block ×12, first 2 shown]
	ds_load_b128 v[74:77], v49 offset:32
	ds_load_b128 v[78:81], v40 offset:32
	;; [unrolled: 1-line block ×6, first 2 shown]
	s_wait_dscnt 0x4
	;;#ASMSTART
	v_dot2_f32_f16 v32, v74, v78, v32
	;;#ASMEND
	;;#ASMSTART
	v_dot2_f32_f16 v32, v75, v79, v32
	;;#ASMEND
	;;#ASMSTART
	v_dot2_f32_f16 v32, v76, v80, v32
	;;#ASMEND
	;;#ASMSTART
	v_dot2_f32_f16 v32, v77, v81, v32
	;;#ASMEND
	s_wait_dscnt 0x3
	;;#ASMSTART
	v_dot2_f32_f16 v33, v74, v82, v33
	;;#ASMEND
	;;#ASMSTART
	v_dot2_f32_f16 v33, v75, v83, v33
	;;#ASMEND
	;;#ASMSTART
	v_dot2_f32_f16 v33, v76, v84, v33
	;;#ASMEND
	;;#ASMSTART
	v_dot2_f32_f16 v33, v77, v85, v33
	;;#ASMEND
	;; [unrolled: 13-line block ×5, first 2 shown]
	;;#ASMSTART
	v_dot2_f32_f16 v37, v94, v82, v37
	;;#ASMEND
	;;#ASMSTART
	v_dot2_f32_f16 v37, v95, v83, v37
	;;#ASMEND
	;; [unrolled: 3-line block ×12, first 2 shown]
	ds_load_b128 v[74:77], v49 offset:48
	ds_load_b128 v[78:81], v40 offset:48
	;; [unrolled: 1-line block ×6, first 2 shown]
	s_wait_dscnt 0x4
	;;#ASMSTART
	v_dot2_f32_f16 v32, v74, v78, v32
	;;#ASMEND
	;;#ASMSTART
	v_dot2_f32_f16 v32, v75, v79, v32
	;;#ASMEND
	;;#ASMSTART
	v_dot2_f32_f16 v32, v76, v80, v32
	;;#ASMEND
	;;#ASMSTART
	v_dot2_f32_f16 v32, v77, v81, v32
	;;#ASMEND
	s_wait_dscnt 0x3
	;;#ASMSTART
	v_dot2_f32_f16 v33, v74, v82, v33
	;;#ASMEND
	;;#ASMSTART
	v_dot2_f32_f16 v33, v75, v83, v33
	;;#ASMEND
	;;#ASMSTART
	v_dot2_f32_f16 v33, v76, v84, v33
	;;#ASMEND
	;;#ASMSTART
	v_dot2_f32_f16 v33, v77, v85, v33
	;;#ASMEND
	;; [unrolled: 13-line block ×5, first 2 shown]
	;;#ASMSTART
	v_dot2_f32_f16 v37, v94, v82, v37
	;;#ASMEND
	;;#ASMSTART
	v_dot2_f32_f16 v37, v95, v83, v37
	;;#ASMEND
	;; [unrolled: 3-line block ×12, first 2 shown]
	ds_load_b128 v[74:77], v49 offset:64
	ds_load_b128 v[78:81], v40 offset:64
	;; [unrolled: 1-line block ×6, first 2 shown]
	s_wait_dscnt 0x4
	;;#ASMSTART
	v_dot2_f32_f16 v32, v74, v78, v32
	;;#ASMEND
	;;#ASMSTART
	v_dot2_f32_f16 v32, v75, v79, v32
	;;#ASMEND
	;;#ASMSTART
	v_dot2_f32_f16 v32, v76, v80, v32
	;;#ASMEND
	;;#ASMSTART
	v_dot2_f32_f16 v32, v77, v81, v32
	;;#ASMEND
	s_wait_dscnt 0x3
	;;#ASMSTART
	v_dot2_f32_f16 v33, v74, v82, v33
	;;#ASMEND
	;;#ASMSTART
	v_dot2_f32_f16 v33, v75, v83, v33
	;;#ASMEND
	;;#ASMSTART
	v_dot2_f32_f16 v33, v76, v84, v33
	;;#ASMEND
	;;#ASMSTART
	v_dot2_f32_f16 v33, v77, v85, v33
	;;#ASMEND
	s_wait_dscnt 0x2
	;;#ASMSTART
	v_dot2_f32_f16 v34, v74, v86, v34
	;;#ASMEND
	;;#ASMSTART
	v_dot2_f32_f16 v34, v75, v87, v34
	;;#ASMEND
	;;#ASMSTART
	v_dot2_f32_f16 v34, v76, v88, v34
	;;#ASMEND
	;;#ASMSTART
	v_dot2_f32_f16 v34, v77, v89, v34
	;;#ASMEND
	s_wait_dscnt 0x1
	;;#ASMSTART
	v_dot2_f32_f16 v35, v74, v90, v35
	;;#ASMEND
	;;#ASMSTART
	v_dot2_f32_f16 v35, v75, v91, v35
	;;#ASMEND
	;;#ASMSTART
	v_dot2_f32_f16 v35, v76, v92, v35
	;;#ASMEND
	;;#ASMSTART
	v_dot2_f32_f16 v35, v77, v93, v35
	;;#ASMEND
	s_wait_dscnt 0x0
	;;#ASMSTART
	v_dot2_f32_f16 v36, v94, v78, v36
	;;#ASMEND
	;;#ASMSTART
	v_dot2_f32_f16 v36, v95, v79, v36
	;;#ASMEND
	;;#ASMSTART
	v_dot2_f32_f16 v36, v96, v80, v36
	;;#ASMEND
	;;#ASMSTART
	v_dot2_f32_f16 v36, v97, v81, v36
	;;#ASMEND
	;;#ASMSTART
	v_dot2_f32_f16 v37, v94, v82, v37
	;;#ASMEND
	;;#ASMSTART
	v_dot2_f32_f16 v37, v95, v83, v37
	;;#ASMEND
	;; [unrolled: 3-line block ×12, first 2 shown]
	ds_load_b128 v[74:77], v49 offset:80
	ds_load_b128 v[78:81], v40 offset:80
	;; [unrolled: 1-line block ×6, first 2 shown]
	s_wait_dscnt 0x4
	;;#ASMSTART
	v_dot2_f32_f16 v32, v74, v78, v32
	;;#ASMEND
	;;#ASMSTART
	v_dot2_f32_f16 v32, v75, v79, v32
	;;#ASMEND
	;;#ASMSTART
	v_dot2_f32_f16 v32, v76, v80, v32
	;;#ASMEND
	;;#ASMSTART
	v_dot2_f32_f16 v32, v77, v81, v32
	;;#ASMEND
	s_wait_dscnt 0x3
	;;#ASMSTART
	v_dot2_f32_f16 v33, v74, v82, v33
	;;#ASMEND
	;;#ASMSTART
	v_dot2_f32_f16 v33, v75, v83, v33
	;;#ASMEND
	;;#ASMSTART
	v_dot2_f32_f16 v33, v76, v84, v33
	;;#ASMEND
	;;#ASMSTART
	v_dot2_f32_f16 v33, v77, v85, v33
	;;#ASMEND
	s_wait_dscnt 0x2
	;;#ASMSTART
	v_dot2_f32_f16 v34, v74, v86, v34
	;;#ASMEND
	;;#ASMSTART
	v_dot2_f32_f16 v34, v75, v87, v34
	;;#ASMEND
	;;#ASMSTART
	v_dot2_f32_f16 v34, v76, v88, v34
	;;#ASMEND
	;;#ASMSTART
	v_dot2_f32_f16 v34, v77, v89, v34
	;;#ASMEND
	s_wait_dscnt 0x1
	;;#ASMSTART
	v_dot2_f32_f16 v35, v74, v90, v35
	;;#ASMEND
	;;#ASMSTART
	v_dot2_f32_f16 v35, v75, v91, v35
	;;#ASMEND
	;;#ASMSTART
	v_dot2_f32_f16 v35, v76, v92, v35
	;;#ASMEND
	;;#ASMSTART
	v_dot2_f32_f16 v35, v77, v93, v35
	;;#ASMEND
	s_wait_dscnt 0x0
	;;#ASMSTART
	v_dot2_f32_f16 v36, v94, v78, v36
	;;#ASMEND
	;;#ASMSTART
	v_dot2_f32_f16 v36, v95, v79, v36
	;;#ASMEND
	;;#ASMSTART
	v_dot2_f32_f16 v36, v96, v80, v36
	;;#ASMEND
	;;#ASMSTART
	v_dot2_f32_f16 v36, v97, v81, v36
	;;#ASMEND
	;;#ASMSTART
	v_dot2_f32_f16 v37, v94, v82, v37
	;;#ASMEND
	;;#ASMSTART
	v_dot2_f32_f16 v37, v95, v83, v37
	;;#ASMEND
	;; [unrolled: 3-line block ×12, first 2 shown]
	ds_load_b128 v[74:77], v49 offset:96
	ds_load_b128 v[78:81], v40 offset:96
	ds_load_b128 v[82:85], v40 offset:480
	ds_load_b128 v[86:89], v40 offset:864
	ds_load_b128 v[90:93], v40 offset:1248
	ds_load_b128 v[94:97], v49 offset:4704
	s_wait_dscnt 0x4
	;;#ASMSTART
	v_dot2_f32_f16 v32, v74, v78, v32
	;;#ASMEND
	;;#ASMSTART
	v_dot2_f32_f16 v32, v75, v79, v32
	;;#ASMEND
	;;#ASMSTART
	v_dot2_f32_f16 v32, v76, v80, v32
	;;#ASMEND
	;;#ASMSTART
	v_dot2_f32_f16 v32, v77, v81, v32
	;;#ASMEND
	s_wait_dscnt 0x3
	;;#ASMSTART
	v_dot2_f32_f16 v33, v74, v82, v33
	;;#ASMEND
	;;#ASMSTART
	v_dot2_f32_f16 v33, v75, v83, v33
	;;#ASMEND
	;;#ASMSTART
	v_dot2_f32_f16 v33, v76, v84, v33
	;;#ASMEND
	;;#ASMSTART
	v_dot2_f32_f16 v33, v77, v85, v33
	;;#ASMEND
	;; [unrolled: 13-line block ×5, first 2 shown]
	;;#ASMSTART
	v_dot2_f32_f16 v37, v94, v82, v37
	;;#ASMEND
	;;#ASMSTART
	v_dot2_f32_f16 v37, v95, v83, v37
	;;#ASMEND
	;; [unrolled: 3-line block ×12, first 2 shown]
	ds_load_b128 v[74:77], v49 offset:112
	ds_load_b128 v[78:81], v40 offset:112
	;; [unrolled: 1-line block ×6, first 2 shown]
	s_wait_dscnt 0x4
	;;#ASMSTART
	v_dot2_f32_f16 v32, v74, v78, v32
	;;#ASMEND
	;;#ASMSTART
	v_dot2_f32_f16 v32, v75, v79, v32
	;;#ASMEND
	;;#ASMSTART
	v_dot2_f32_f16 v32, v76, v80, v32
	;;#ASMEND
	;;#ASMSTART
	v_dot2_f32_f16 v32, v77, v81, v32
	;;#ASMEND
	s_wait_dscnt 0x3
	;;#ASMSTART
	v_dot2_f32_f16 v33, v74, v82, v33
	;;#ASMEND
	;;#ASMSTART
	v_dot2_f32_f16 v33, v75, v83, v33
	;;#ASMEND
	;;#ASMSTART
	v_dot2_f32_f16 v33, v76, v84, v33
	;;#ASMEND
	;;#ASMSTART
	v_dot2_f32_f16 v33, v77, v85, v33
	;;#ASMEND
	;; [unrolled: 13-line block ×5, first 2 shown]
	;;#ASMSTART
	v_dot2_f32_f16 v37, v94, v82, v37
	;;#ASMEND
	;;#ASMSTART
	v_dot2_f32_f16 v37, v95, v83, v37
	;;#ASMEND
	;; [unrolled: 3-line block ×12, first 2 shown]
	s_barrier_signal -1
	s_barrier_wait -1
	s_clause 0x1
	global_load_b128 v[74:77], v[0:1], off offset:128
	global_load_b128 v[78:81], v[2:3], off offset:128
	v_add_nc_u64_e32 v[6:7], v[6:7], v[26:27]
	s_wait_loadcnt 0x1
	ds_store_b128 v47, v[74:77]
	s_wait_loadcnt 0x0
	ds_store_b128 v48, v[78:81]
	s_wait_dscnt 0x0
	s_barrier_signal -1
	s_barrier_wait -1
	ds_load_b128 v[74:77], v49
	ds_load_b128 v[78:81], v40 offset:128
	ds_load_b128 v[82:85], v40 offset:512
	ds_load_b128 v[86:89], v40 offset:896
	ds_load_b128 v[90:93], v40 offset:1280
	ds_load_b128 v[94:97], v49 offset:4608
	s_wait_dscnt 0x4
	;;#ASMSTART
	v_dot2_f32_f16 v32, v74, v78, v32
	;;#ASMEND
	;;#ASMSTART
	v_dot2_f32_f16 v32, v75, v79, v32
	;;#ASMEND
	;;#ASMSTART
	v_dot2_f32_f16 v32, v76, v80, v32
	;;#ASMEND
	;;#ASMSTART
	v_dot2_f32_f16 v32, v77, v81, v32
	;;#ASMEND
	s_wait_dscnt 0x3
	;;#ASMSTART
	v_dot2_f32_f16 v33, v74, v82, v33
	;;#ASMEND
	;;#ASMSTART
	v_dot2_f32_f16 v33, v75, v83, v33
	;;#ASMEND
	;;#ASMSTART
	v_dot2_f32_f16 v33, v76, v84, v33
	;;#ASMEND
	;;#ASMSTART
	v_dot2_f32_f16 v33, v77, v85, v33
	;;#ASMEND
	;; [unrolled: 13-line block ×5, first 2 shown]
	;;#ASMSTART
	v_dot2_f32_f16 v37, v94, v82, v37
	;;#ASMEND
	;;#ASMSTART
	v_dot2_f32_f16 v37, v95, v83, v37
	;;#ASMEND
	;; [unrolled: 3-line block ×12, first 2 shown]
	ds_load_b128 v[74:77], v49 offset:16
	ds_load_b128 v[78:81], v40 offset:144
	;; [unrolled: 1-line block ×6, first 2 shown]
	s_wait_dscnt 0x4
	;;#ASMSTART
	v_dot2_f32_f16 v32, v74, v78, v32
	;;#ASMEND
	;;#ASMSTART
	v_dot2_f32_f16 v32, v75, v79, v32
	;;#ASMEND
	;;#ASMSTART
	v_dot2_f32_f16 v32, v76, v80, v32
	;;#ASMEND
	;;#ASMSTART
	v_dot2_f32_f16 v32, v77, v81, v32
	;;#ASMEND
	s_wait_dscnt 0x3
	;;#ASMSTART
	v_dot2_f32_f16 v33, v74, v82, v33
	;;#ASMEND
	;;#ASMSTART
	v_dot2_f32_f16 v33, v75, v83, v33
	;;#ASMEND
	;;#ASMSTART
	v_dot2_f32_f16 v33, v76, v84, v33
	;;#ASMEND
	;;#ASMSTART
	v_dot2_f32_f16 v33, v77, v85, v33
	;;#ASMEND
	;; [unrolled: 13-line block ×5, first 2 shown]
	;;#ASMSTART
	v_dot2_f32_f16 v37, v94, v82, v37
	;;#ASMEND
	;;#ASMSTART
	v_dot2_f32_f16 v37, v95, v83, v37
	;;#ASMEND
	;; [unrolled: 3-line block ×12, first 2 shown]
	ds_load_b128 v[74:77], v49 offset:32
	ds_load_b128 v[78:81], v40 offset:160
	ds_load_b128 v[82:85], v40 offset:544
	ds_load_b128 v[86:89], v40 offset:928
	ds_load_b128 v[90:93], v40 offset:1312
	ds_load_b128 v[94:97], v49 offset:4640
	s_wait_dscnt 0x4
	;;#ASMSTART
	v_dot2_f32_f16 v32, v74, v78, v32
	;;#ASMEND
	;;#ASMSTART
	v_dot2_f32_f16 v32, v75, v79, v32
	;;#ASMEND
	;;#ASMSTART
	v_dot2_f32_f16 v32, v76, v80, v32
	;;#ASMEND
	;;#ASMSTART
	v_dot2_f32_f16 v32, v77, v81, v32
	;;#ASMEND
	s_wait_dscnt 0x3
	;;#ASMSTART
	v_dot2_f32_f16 v33, v74, v82, v33
	;;#ASMEND
	;;#ASMSTART
	v_dot2_f32_f16 v33, v75, v83, v33
	;;#ASMEND
	;;#ASMSTART
	v_dot2_f32_f16 v33, v76, v84, v33
	;;#ASMEND
	;;#ASMSTART
	v_dot2_f32_f16 v33, v77, v85, v33
	;;#ASMEND
	;; [unrolled: 13-line block ×5, first 2 shown]
	;;#ASMSTART
	v_dot2_f32_f16 v37, v94, v82, v37
	;;#ASMEND
	;;#ASMSTART
	v_dot2_f32_f16 v37, v95, v83, v37
	;;#ASMEND
	;;#ASMSTART
	v_dot2_f32_f16 v37, v96, v84, v37
	;;#ASMEND
	;;#ASMSTART
	v_dot2_f32_f16 v37, v97, v85, v37
	;;#ASMEND
	;;#ASMSTART
	v_dot2_f32_f16 v71, v94, v86, v71
	;;#ASMEND
	;;#ASMSTART
	v_dot2_f32_f16 v71, v95, v87, v71
	;;#ASMEND
	;;#ASMSTART
	v_dot2_f32_f16 v71, v96, v88, v71
	;;#ASMEND
	;;#ASMSTART
	v_dot2_f32_f16 v71, v97, v89, v71
	;;#ASMEND
	;;#ASMSTART
	v_dot2_f32_f16 v72, v94, v90, v72
	;;#ASMEND
	;;#ASMSTART
	v_dot2_f32_f16 v72, v95, v91, v72
	;;#ASMEND
	;;#ASMSTART
	v_dot2_f32_f16 v72, v96, v92, v72
	;;#ASMEND
	;;#ASMSTART
	v_dot2_f32_f16 v72, v97, v93, v72
	;;#ASMEND
	ds_load_b128 v[74:77], v49 offset:48
	ds_load_b128 v[78:81], v40 offset:176
	;; [unrolled: 1-line block ×6, first 2 shown]
	s_wait_dscnt 0x4
	;;#ASMSTART
	v_dot2_f32_f16 v32, v74, v78, v32
	;;#ASMEND
	;;#ASMSTART
	v_dot2_f32_f16 v32, v75, v79, v32
	;;#ASMEND
	;;#ASMSTART
	v_dot2_f32_f16 v32, v76, v80, v32
	;;#ASMEND
	;;#ASMSTART
	v_dot2_f32_f16 v32, v77, v81, v32
	;;#ASMEND
	s_wait_dscnt 0x3
	;;#ASMSTART
	v_dot2_f32_f16 v33, v74, v82, v33
	;;#ASMEND
	;;#ASMSTART
	v_dot2_f32_f16 v33, v75, v83, v33
	;;#ASMEND
	;;#ASMSTART
	v_dot2_f32_f16 v33, v76, v84, v33
	;;#ASMEND
	;;#ASMSTART
	v_dot2_f32_f16 v33, v77, v85, v33
	;;#ASMEND
	s_wait_dscnt 0x2
	;;#ASMSTART
	v_dot2_f32_f16 v34, v74, v86, v34
	;;#ASMEND
	;;#ASMSTART
	v_dot2_f32_f16 v34, v75, v87, v34
	;;#ASMEND
	;;#ASMSTART
	v_dot2_f32_f16 v34, v76, v88, v34
	;;#ASMEND
	;;#ASMSTART
	v_dot2_f32_f16 v34, v77, v89, v34
	;;#ASMEND
	s_wait_dscnt 0x1
	;;#ASMSTART
	v_dot2_f32_f16 v35, v74, v90, v35
	;;#ASMEND
	;;#ASMSTART
	v_dot2_f32_f16 v35, v75, v91, v35
	;;#ASMEND
	;;#ASMSTART
	v_dot2_f32_f16 v35, v76, v92, v35
	;;#ASMEND
	;;#ASMSTART
	v_dot2_f32_f16 v35, v77, v93, v35
	;;#ASMEND
	s_wait_dscnt 0x0
	;;#ASMSTART
	v_dot2_f32_f16 v36, v94, v78, v36
	;;#ASMEND
	;;#ASMSTART
	v_dot2_f32_f16 v36, v95, v79, v36
	;;#ASMEND
	;;#ASMSTART
	v_dot2_f32_f16 v36, v96, v80, v36
	;;#ASMEND
	;;#ASMSTART
	v_dot2_f32_f16 v36, v97, v81, v36
	;;#ASMEND
	;;#ASMSTART
	v_dot2_f32_f16 v37, v94, v82, v37
	;;#ASMEND
	;;#ASMSTART
	v_dot2_f32_f16 v37, v95, v83, v37
	;;#ASMEND
	;; [unrolled: 3-line block ×12, first 2 shown]
	ds_load_b128 v[74:77], v49 offset:64
	ds_load_b128 v[78:81], v40 offset:192
	;; [unrolled: 1-line block ×6, first 2 shown]
	s_wait_dscnt 0x4
	;;#ASMSTART
	v_dot2_f32_f16 v32, v74, v78, v32
	;;#ASMEND
	;;#ASMSTART
	v_dot2_f32_f16 v32, v75, v79, v32
	;;#ASMEND
	;;#ASMSTART
	v_dot2_f32_f16 v32, v76, v80, v32
	;;#ASMEND
	;;#ASMSTART
	v_dot2_f32_f16 v32, v77, v81, v32
	;;#ASMEND
	s_wait_dscnt 0x3
	;;#ASMSTART
	v_dot2_f32_f16 v33, v74, v82, v33
	;;#ASMEND
	;;#ASMSTART
	v_dot2_f32_f16 v33, v75, v83, v33
	;;#ASMEND
	;;#ASMSTART
	v_dot2_f32_f16 v33, v76, v84, v33
	;;#ASMEND
	;;#ASMSTART
	v_dot2_f32_f16 v33, v77, v85, v33
	;;#ASMEND
	;; [unrolled: 13-line block ×5, first 2 shown]
	;;#ASMSTART
	v_dot2_f32_f16 v37, v94, v82, v37
	;;#ASMEND
	;;#ASMSTART
	v_dot2_f32_f16 v37, v95, v83, v37
	;;#ASMEND
	;;#ASMSTART
	v_dot2_f32_f16 v37, v96, v84, v37
	;;#ASMEND
	;;#ASMSTART
	v_dot2_f32_f16 v37, v97, v85, v37
	;;#ASMEND
	;;#ASMSTART
	v_dot2_f32_f16 v71, v94, v86, v71
	;;#ASMEND
	;;#ASMSTART
	v_dot2_f32_f16 v71, v95, v87, v71
	;;#ASMEND
	;;#ASMSTART
	v_dot2_f32_f16 v71, v96, v88, v71
	;;#ASMEND
	;;#ASMSTART
	v_dot2_f32_f16 v71, v97, v89, v71
	;;#ASMEND
	;;#ASMSTART
	v_dot2_f32_f16 v72, v94, v90, v72
	;;#ASMEND
	;;#ASMSTART
	v_dot2_f32_f16 v72, v95, v91, v72
	;;#ASMEND
	;;#ASMSTART
	v_dot2_f32_f16 v72, v96, v92, v72
	;;#ASMEND
	;;#ASMSTART
	v_dot2_f32_f16 v72, v97, v93, v72
	;;#ASMEND
	ds_load_b128 v[74:77], v49 offset:80
	ds_load_b128 v[78:81], v40 offset:208
	;; [unrolled: 1-line block ×6, first 2 shown]
	s_wait_dscnt 0x4
	;;#ASMSTART
	v_dot2_f32_f16 v32, v74, v78, v32
	;;#ASMEND
	;;#ASMSTART
	v_dot2_f32_f16 v32, v75, v79, v32
	;;#ASMEND
	;;#ASMSTART
	v_dot2_f32_f16 v32, v76, v80, v32
	;;#ASMEND
	;;#ASMSTART
	v_dot2_f32_f16 v32, v77, v81, v32
	;;#ASMEND
	s_wait_dscnt 0x3
	;;#ASMSTART
	v_dot2_f32_f16 v33, v74, v82, v33
	;;#ASMEND
	;;#ASMSTART
	v_dot2_f32_f16 v33, v75, v83, v33
	;;#ASMEND
	;;#ASMSTART
	v_dot2_f32_f16 v33, v76, v84, v33
	;;#ASMEND
	;;#ASMSTART
	v_dot2_f32_f16 v33, v77, v85, v33
	;;#ASMEND
	;; [unrolled: 13-line block ×5, first 2 shown]
	;;#ASMSTART
	v_dot2_f32_f16 v37, v94, v82, v37
	;;#ASMEND
	;;#ASMSTART
	v_dot2_f32_f16 v37, v95, v83, v37
	;;#ASMEND
	;; [unrolled: 3-line block ×12, first 2 shown]
	ds_load_b128 v[74:77], v49 offset:96
	ds_load_b128 v[78:81], v40 offset:224
	;; [unrolled: 1-line block ×6, first 2 shown]
	s_wait_dscnt 0x4
	;;#ASMSTART
	v_dot2_f32_f16 v32, v74, v78, v32
	;;#ASMEND
	;;#ASMSTART
	v_dot2_f32_f16 v32, v75, v79, v32
	;;#ASMEND
	;;#ASMSTART
	v_dot2_f32_f16 v32, v76, v80, v32
	;;#ASMEND
	;;#ASMSTART
	v_dot2_f32_f16 v32, v77, v81, v32
	;;#ASMEND
	s_wait_dscnt 0x3
	;;#ASMSTART
	v_dot2_f32_f16 v33, v74, v82, v33
	;;#ASMEND
	;;#ASMSTART
	v_dot2_f32_f16 v33, v75, v83, v33
	;;#ASMEND
	;;#ASMSTART
	v_dot2_f32_f16 v33, v76, v84, v33
	;;#ASMEND
	;;#ASMSTART
	v_dot2_f32_f16 v33, v77, v85, v33
	;;#ASMEND
	;; [unrolled: 13-line block ×5, first 2 shown]
	;;#ASMSTART
	v_dot2_f32_f16 v37, v94, v82, v37
	;;#ASMEND
	;;#ASMSTART
	v_dot2_f32_f16 v37, v95, v83, v37
	;;#ASMEND
	;;#ASMSTART
	v_dot2_f32_f16 v37, v96, v84, v37
	;;#ASMEND
	;;#ASMSTART
	v_dot2_f32_f16 v37, v97, v85, v37
	;;#ASMEND
	;;#ASMSTART
	v_dot2_f32_f16 v71, v94, v86, v71
	;;#ASMEND
	;;#ASMSTART
	v_dot2_f32_f16 v71, v95, v87, v71
	;;#ASMEND
	;;#ASMSTART
	v_dot2_f32_f16 v71, v96, v88, v71
	;;#ASMEND
	;;#ASMSTART
	v_dot2_f32_f16 v71, v97, v89, v71
	;;#ASMEND
	;;#ASMSTART
	v_dot2_f32_f16 v72, v94, v90, v72
	;;#ASMEND
	;;#ASMSTART
	v_dot2_f32_f16 v72, v95, v91, v72
	;;#ASMEND
	;;#ASMSTART
	v_dot2_f32_f16 v72, v96, v92, v72
	;;#ASMEND
	;;#ASMSTART
	v_dot2_f32_f16 v72, v97, v93, v72
	;;#ASMEND
	ds_load_b128 v[74:77], v49 offset:112
	ds_load_b128 v[78:81], v40 offset:240
	;; [unrolled: 1-line block ×6, first 2 shown]
	s_wait_dscnt 0x4
	;;#ASMSTART
	v_dot2_f32_f16 v32, v74, v78, v32
	;;#ASMEND
	;;#ASMSTART
	v_dot2_f32_f16 v32, v75, v79, v32
	;;#ASMEND
	;;#ASMSTART
	v_dot2_f32_f16 v32, v76, v80, v32
	;;#ASMEND
	;;#ASMSTART
	v_dot2_f32_f16 v32, v77, v81, v32
	;;#ASMEND
	s_wait_dscnt 0x3
	;;#ASMSTART
	v_dot2_f32_f16 v33, v74, v82, v33
	;;#ASMEND
	;;#ASMSTART
	v_dot2_f32_f16 v33, v75, v83, v33
	;;#ASMEND
	;;#ASMSTART
	v_dot2_f32_f16 v33, v76, v84, v33
	;;#ASMEND
	;;#ASMSTART
	v_dot2_f32_f16 v33, v77, v85, v33
	;;#ASMEND
	;; [unrolled: 13-line block ×5, first 2 shown]
	;;#ASMSTART
	v_dot2_f32_f16 v37, v94, v82, v37
	;;#ASMEND
	;;#ASMSTART
	v_dot2_f32_f16 v37, v95, v83, v37
	;;#ASMEND
	;;#ASMSTART
	v_dot2_f32_f16 v37, v96, v84, v37
	;;#ASMEND
	;;#ASMSTART
	v_dot2_f32_f16 v37, v97, v85, v37
	;;#ASMEND
	;;#ASMSTART
	v_dot2_f32_f16 v71, v94, v86, v71
	;;#ASMEND
	;;#ASMSTART
	v_dot2_f32_f16 v71, v95, v87, v71
	;;#ASMEND
	;;#ASMSTART
	v_dot2_f32_f16 v71, v96, v88, v71
	;;#ASMEND
	;;#ASMSTART
	v_dot2_f32_f16 v71, v97, v89, v71
	;;#ASMEND
	;;#ASMSTART
	v_dot2_f32_f16 v72, v94, v90, v72
	;;#ASMEND
	;;#ASMSTART
	v_dot2_f32_f16 v72, v95, v91, v72
	;;#ASMEND
	;;#ASMSTART
	v_dot2_f32_f16 v72, v96, v92, v72
	;;#ASMEND
	;;#ASMSTART
	v_dot2_f32_f16 v72, v97, v93, v72
	;;#ASMEND
	s_barrier_signal -1
	s_barrier_wait -1
	s_clause 0x1
	global_load_b128 v[74:77], v[0:1], off offset:256
	global_load_b128 v[78:81], v[2:3], off offset:256
	s_wait_loadcnt 0x1
	ds_store_b128 v47, v[74:77]
	s_wait_loadcnt 0x0
	ds_store_b128 v48, v[78:81]
	s_wait_dscnt 0x0
	s_barrier_signal -1
	s_barrier_wait -1
	ds_load_b128 v[0:3], v49
	ds_load_b128 v[74:77], v40 offset:256
	ds_load_b128 v[78:81], v40 offset:640
	ds_load_b128 v[82:85], v40 offset:1024
	ds_load_b128 v[86:89], v40 offset:1408
	ds_load_b128 v[90:93], v49 offset:4608
	s_wait_dscnt 0x4
	;;#ASMSTART
	v_dot2_f32_f16 v32, v0, v74, v32
	;;#ASMEND
	;;#ASMSTART
	v_dot2_f32_f16 v32, v1, v75, v32
	;;#ASMEND
	;;#ASMSTART
	v_dot2_f32_f16 v32, v2, v76, v32
	;;#ASMEND
	;;#ASMSTART
	v_dot2_f32_f16 v32, v3, v77, v32
	;;#ASMEND
	s_wait_dscnt 0x3
	;;#ASMSTART
	v_dot2_f32_f16 v33, v0, v78, v33
	;;#ASMEND
	;;#ASMSTART
	v_dot2_f32_f16 v33, v1, v79, v33
	;;#ASMEND
	;;#ASMSTART
	v_dot2_f32_f16 v33, v2, v80, v33
	;;#ASMEND
	;;#ASMSTART
	v_dot2_f32_f16 v33, v3, v81, v33
	;;#ASMEND
	;; [unrolled: 13-line block ×5, first 2 shown]
	;;#ASMSTART
	v_dot2_f32_f16 v37, v90, v78, v37
	;;#ASMEND
	;;#ASMSTART
	v_dot2_f32_f16 v37, v91, v79, v37
	;;#ASMEND
	;;#ASMSTART
	v_dot2_f32_f16 v37, v92, v80, v37
	;;#ASMEND
	;;#ASMSTART
	v_dot2_f32_f16 v37, v93, v81, v37
	;;#ASMEND
	;;#ASMSTART
	v_dot2_f32_f16 v71, v90, v82, v71
	;;#ASMEND
	;;#ASMSTART
	v_dot2_f32_f16 v71, v91, v83, v71
	;;#ASMEND
	;;#ASMSTART
	v_dot2_f32_f16 v71, v92, v84, v71
	;;#ASMEND
	;;#ASMSTART
	v_dot2_f32_f16 v71, v93, v85, v71
	;;#ASMEND
	;;#ASMSTART
	v_dot2_f32_f16 v72, v90, v86, v72
	;;#ASMEND
	;;#ASMSTART
	v_dot2_f32_f16 v72, v91, v87, v72
	;;#ASMEND
	;;#ASMSTART
	v_dot2_f32_f16 v72, v92, v88, v72
	;;#ASMEND
	;;#ASMSTART
	v_dot2_f32_f16 v72, v93, v89, v72
	;;#ASMEND
	ds_load_b128 v[0:3], v49 offset:16
	ds_load_b128 v[74:77], v40 offset:272
	;; [unrolled: 1-line block ×6, first 2 shown]
	s_wait_dscnt 0x4
	;;#ASMSTART
	v_dot2_f32_f16 v32, v0, v74, v32
	;;#ASMEND
	;;#ASMSTART
	v_dot2_f32_f16 v32, v1, v75, v32
	;;#ASMEND
	;;#ASMSTART
	v_dot2_f32_f16 v32, v2, v76, v32
	;;#ASMEND
	;;#ASMSTART
	v_dot2_f32_f16 v32, v3, v77, v32
	;;#ASMEND
	s_wait_dscnt 0x3
	;;#ASMSTART
	v_dot2_f32_f16 v33, v0, v78, v33
	;;#ASMEND
	;;#ASMSTART
	v_dot2_f32_f16 v33, v1, v79, v33
	;;#ASMEND
	;;#ASMSTART
	v_dot2_f32_f16 v33, v2, v80, v33
	;;#ASMEND
	;;#ASMSTART
	v_dot2_f32_f16 v33, v3, v81, v33
	;;#ASMEND
	s_wait_dscnt 0x2
	;;#ASMSTART
	v_dot2_f32_f16 v34, v0, v82, v34
	;;#ASMEND
	;;#ASMSTART
	v_dot2_f32_f16 v34, v1, v83, v34
	;;#ASMEND
	;;#ASMSTART
	v_dot2_f32_f16 v34, v2, v84, v34
	;;#ASMEND
	;;#ASMSTART
	v_dot2_f32_f16 v34, v3, v85, v34
	;;#ASMEND
	s_wait_dscnt 0x1
	;;#ASMSTART
	v_dot2_f32_f16 v35, v0, v86, v35
	;;#ASMEND
	;;#ASMSTART
	v_dot2_f32_f16 v35, v1, v87, v35
	;;#ASMEND
	;;#ASMSTART
	v_dot2_f32_f16 v35, v2, v88, v35
	;;#ASMEND
	;;#ASMSTART
	v_dot2_f32_f16 v35, v3, v89, v35
	;;#ASMEND
	s_wait_dscnt 0x0
	;;#ASMSTART
	v_dot2_f32_f16 v36, v90, v74, v36
	;;#ASMEND
	;;#ASMSTART
	v_dot2_f32_f16 v36, v91, v75, v36
	;;#ASMEND
	;;#ASMSTART
	v_dot2_f32_f16 v36, v92, v76, v36
	;;#ASMEND
	;;#ASMSTART
	v_dot2_f32_f16 v36, v93, v77, v36
	;;#ASMEND
	;;#ASMSTART
	v_dot2_f32_f16 v37, v90, v78, v37
	;;#ASMEND
	;;#ASMSTART
	v_dot2_f32_f16 v37, v91, v79, v37
	;;#ASMEND
	;; [unrolled: 3-line block ×12, first 2 shown]
	ds_load_b128 v[0:3], v49 offset:32
	ds_load_b128 v[74:77], v40 offset:288
	;; [unrolled: 1-line block ×6, first 2 shown]
	s_wait_dscnt 0x4
	;;#ASMSTART
	v_dot2_f32_f16 v32, v0, v74, v32
	;;#ASMEND
	;;#ASMSTART
	v_dot2_f32_f16 v32, v1, v75, v32
	;;#ASMEND
	;;#ASMSTART
	v_dot2_f32_f16 v32, v2, v76, v32
	;;#ASMEND
	;;#ASMSTART
	v_dot2_f32_f16 v32, v3, v77, v32
	;;#ASMEND
	s_wait_dscnt 0x3
	;;#ASMSTART
	v_dot2_f32_f16 v33, v0, v78, v33
	;;#ASMEND
	;;#ASMSTART
	v_dot2_f32_f16 v33, v1, v79, v33
	;;#ASMEND
	;;#ASMSTART
	v_dot2_f32_f16 v33, v2, v80, v33
	;;#ASMEND
	;;#ASMSTART
	v_dot2_f32_f16 v33, v3, v81, v33
	;;#ASMEND
	;; [unrolled: 13-line block ×5, first 2 shown]
	;;#ASMSTART
	v_dot2_f32_f16 v37, v90, v78, v37
	;;#ASMEND
	;;#ASMSTART
	v_dot2_f32_f16 v37, v91, v79, v37
	;;#ASMEND
	;; [unrolled: 3-line block ×12, first 2 shown]
	ds_load_b128 v[0:3], v49 offset:48
	ds_load_b128 v[74:77], v40 offset:304
	;; [unrolled: 1-line block ×6, first 2 shown]
	s_wait_dscnt 0x4
	;;#ASMSTART
	v_dot2_f32_f16 v32, v0, v74, v32
	;;#ASMEND
	;;#ASMSTART
	v_dot2_f32_f16 v32, v1, v75, v32
	;;#ASMEND
	;;#ASMSTART
	v_dot2_f32_f16 v32, v2, v76, v32
	;;#ASMEND
	;;#ASMSTART
	v_dot2_f32_f16 v32, v3, v77, v32
	;;#ASMEND
	s_wait_dscnt 0x3
	;;#ASMSTART
	v_dot2_f32_f16 v33, v0, v78, v33
	;;#ASMEND
	;;#ASMSTART
	v_dot2_f32_f16 v33, v1, v79, v33
	;;#ASMEND
	;;#ASMSTART
	v_dot2_f32_f16 v33, v2, v80, v33
	;;#ASMEND
	;;#ASMSTART
	v_dot2_f32_f16 v33, v3, v81, v33
	;;#ASMEND
	s_wait_dscnt 0x2
	;;#ASMSTART
	v_dot2_f32_f16 v34, v0, v82, v34
	;;#ASMEND
	;;#ASMSTART
	v_dot2_f32_f16 v34, v1, v83, v34
	;;#ASMEND
	;;#ASMSTART
	v_dot2_f32_f16 v34, v2, v84, v34
	;;#ASMEND
	;;#ASMSTART
	v_dot2_f32_f16 v34, v3, v85, v34
	;;#ASMEND
	s_wait_dscnt 0x1
	;;#ASMSTART
	v_dot2_f32_f16 v35, v0, v86, v35
	;;#ASMEND
	;;#ASMSTART
	v_dot2_f32_f16 v35, v1, v87, v35
	;;#ASMEND
	;;#ASMSTART
	v_dot2_f32_f16 v35, v2, v88, v35
	;;#ASMEND
	;;#ASMSTART
	v_dot2_f32_f16 v35, v3, v89, v35
	;;#ASMEND
	s_wait_dscnt 0x0
	;;#ASMSTART
	v_dot2_f32_f16 v36, v90, v74, v36
	;;#ASMEND
	;;#ASMSTART
	v_dot2_f32_f16 v36, v91, v75, v36
	;;#ASMEND
	;;#ASMSTART
	v_dot2_f32_f16 v36, v92, v76, v36
	;;#ASMEND
	;;#ASMSTART
	v_dot2_f32_f16 v36, v93, v77, v36
	;;#ASMEND
	;;#ASMSTART
	v_dot2_f32_f16 v37, v90, v78, v37
	;;#ASMEND
	;;#ASMSTART
	v_dot2_f32_f16 v37, v91, v79, v37
	;;#ASMEND
	;;#ASMSTART
	v_dot2_f32_f16 v37, v92, v80, v37
	;;#ASMEND
	;;#ASMSTART
	v_dot2_f32_f16 v37, v93, v81, v37
	;;#ASMEND
	;;#ASMSTART
	v_dot2_f32_f16 v71, v90, v82, v71
	;;#ASMEND
	;;#ASMSTART
	v_dot2_f32_f16 v71, v91, v83, v71
	;;#ASMEND
	;;#ASMSTART
	v_dot2_f32_f16 v71, v92, v84, v71
	;;#ASMEND
	;;#ASMSTART
	v_dot2_f32_f16 v71, v93, v85, v71
	;;#ASMEND
	;;#ASMSTART
	v_dot2_f32_f16 v72, v90, v86, v72
	;;#ASMEND
	;;#ASMSTART
	v_dot2_f32_f16 v72, v91, v87, v72
	;;#ASMEND
	;;#ASMSTART
	v_dot2_f32_f16 v72, v92, v88, v72
	;;#ASMEND
	;;#ASMSTART
	v_dot2_f32_f16 v72, v93, v89, v72
	;;#ASMEND
	ds_load_b128 v[0:3], v49 offset:64
	ds_load_b128 v[74:77], v40 offset:320
	;; [unrolled: 1-line block ×6, first 2 shown]
	s_wait_dscnt 0x4
	;;#ASMSTART
	v_dot2_f32_f16 v32, v0, v74, v32
	;;#ASMEND
	;;#ASMSTART
	v_dot2_f32_f16 v32, v1, v75, v32
	;;#ASMEND
	;;#ASMSTART
	v_dot2_f32_f16 v32, v2, v76, v32
	;;#ASMEND
	;;#ASMSTART
	v_dot2_f32_f16 v32, v3, v77, v32
	;;#ASMEND
	s_wait_dscnt 0x3
	;;#ASMSTART
	v_dot2_f32_f16 v33, v0, v78, v33
	;;#ASMEND
	;;#ASMSTART
	v_dot2_f32_f16 v33, v1, v79, v33
	;;#ASMEND
	;;#ASMSTART
	v_dot2_f32_f16 v33, v2, v80, v33
	;;#ASMEND
	;;#ASMSTART
	v_dot2_f32_f16 v33, v3, v81, v33
	;;#ASMEND
	;; [unrolled: 13-line block ×5, first 2 shown]
	;;#ASMSTART
	v_dot2_f32_f16 v37, v90, v78, v37
	;;#ASMEND
	;;#ASMSTART
	v_dot2_f32_f16 v37, v91, v79, v37
	;;#ASMEND
	;; [unrolled: 3-line block ×12, first 2 shown]
	ds_load_b128 v[0:3], v49 offset:80
	ds_load_b128 v[74:77], v40 offset:336
	;; [unrolled: 1-line block ×6, first 2 shown]
	s_wait_dscnt 0x4
	;;#ASMSTART
	v_dot2_f32_f16 v32, v0, v74, v32
	;;#ASMEND
	;;#ASMSTART
	v_dot2_f32_f16 v32, v1, v75, v32
	;;#ASMEND
	;;#ASMSTART
	v_dot2_f32_f16 v32, v2, v76, v32
	;;#ASMEND
	;;#ASMSTART
	v_dot2_f32_f16 v32, v3, v77, v32
	;;#ASMEND
	s_wait_dscnt 0x3
	;;#ASMSTART
	v_dot2_f32_f16 v33, v0, v78, v33
	;;#ASMEND
	;;#ASMSTART
	v_dot2_f32_f16 v33, v1, v79, v33
	;;#ASMEND
	;;#ASMSTART
	v_dot2_f32_f16 v33, v2, v80, v33
	;;#ASMEND
	;;#ASMSTART
	v_dot2_f32_f16 v33, v3, v81, v33
	;;#ASMEND
	;; [unrolled: 13-line block ×5, first 2 shown]
	;;#ASMSTART
	v_dot2_f32_f16 v37, v90, v78, v37
	;;#ASMEND
	;;#ASMSTART
	v_dot2_f32_f16 v37, v91, v79, v37
	;;#ASMEND
	;; [unrolled: 3-line block ×12, first 2 shown]
	ds_load_b128 v[0:3], v49 offset:96
	ds_load_b128 v[74:77], v40 offset:352
	;; [unrolled: 1-line block ×6, first 2 shown]
	s_wait_dscnt 0x4
	;;#ASMSTART
	v_dot2_f32_f16 v32, v0, v74, v32
	;;#ASMEND
	;;#ASMSTART
	v_dot2_f32_f16 v32, v1, v75, v32
	;;#ASMEND
	;;#ASMSTART
	v_dot2_f32_f16 v32, v2, v76, v32
	;;#ASMEND
	;;#ASMSTART
	v_dot2_f32_f16 v32, v3, v77, v32
	;;#ASMEND
	s_wait_dscnt 0x3
	;;#ASMSTART
	v_dot2_f32_f16 v33, v0, v78, v33
	;;#ASMEND
	;;#ASMSTART
	v_dot2_f32_f16 v33, v1, v79, v33
	;;#ASMEND
	;;#ASMSTART
	v_dot2_f32_f16 v33, v2, v80, v33
	;;#ASMEND
	;;#ASMSTART
	v_dot2_f32_f16 v33, v3, v81, v33
	;;#ASMEND
	;; [unrolled: 13-line block ×5, first 2 shown]
	;;#ASMSTART
	v_dot2_f32_f16 v37, v90, v78, v37
	;;#ASMEND
	;;#ASMSTART
	v_dot2_f32_f16 v37, v91, v79, v37
	;;#ASMEND
	;; [unrolled: 3-line block ×12, first 2 shown]
	ds_load_b128 v[0:3], v49 offset:112
	ds_load_b128 v[74:77], v40 offset:368
	;; [unrolled: 1-line block ×6, first 2 shown]
	s_wait_dscnt 0x4
	;;#ASMSTART
	v_dot2_f32_f16 v32, v0, v74, v32
	;;#ASMEND
	;;#ASMSTART
	v_dot2_f32_f16 v32, v1, v75, v32
	;;#ASMEND
	;;#ASMSTART
	v_dot2_f32_f16 v32, v2, v76, v32
	;;#ASMEND
	;;#ASMSTART
	v_dot2_f32_f16 v32, v3, v77, v32
	;;#ASMEND
	s_wait_dscnt 0x3
	;;#ASMSTART
	v_dot2_f32_f16 v33, v0, v78, v33
	;;#ASMEND
	;;#ASMSTART
	v_dot2_f32_f16 v33, v1, v79, v33
	;;#ASMEND
	;;#ASMSTART
	v_dot2_f32_f16 v33, v2, v80, v33
	;;#ASMEND
	;;#ASMSTART
	v_dot2_f32_f16 v33, v3, v81, v33
	;;#ASMEND
	;; [unrolled: 13-line block ×5, first 2 shown]
	;;#ASMSTART
	v_dot2_f32_f16 v37, v90, v78, v37
	;;#ASMEND
	;;#ASMSTART
	v_dot2_f32_f16 v37, v91, v79, v37
	;;#ASMEND
	;; [unrolled: 3-line block ×12, first 2 shown]
	s_clause 0x1
	global_load_u16 v0, v8, s[34:35] scale_offset
	global_load_u16 v1, v8, s[34:35] offset:64 scale_offset
	s_wait_loadcnt 0x0
	s_barrier_signal -1
	s_barrier_wait -1
	v_cvt_f32_f16_e32 v0, v0
	v_cvt_f32_f16_e32 v1, v1
	v_lshlrev_b32_e32 v9, 2, v4
	v_add_nc_u64_e32 v[4:5], s[2:3], v[24:25]
	s_wait_xcnt 0x0
	s_delay_alu instid0(VALU_DEP_3) | instskip(NEXT) | instid1(VALU_DEP_2)
	v_dual_add_f32 v8, v34, v0 :: v_dual_add_f32 v34, v72, v1
	v_add_nc_u64_e32 v[4:5], v[4:5], v[26:27]
	s_clause 0x1
	global_load_b128 v[74:77], v[4:5], off
	global_load_b128 v[78:81], v[6:7], off
	s_wait_xcnt 0x0
	v_dual_add_f32 v4, v32, v0 :: v_dual_add_f32 v6, v33, v0
	v_dual_add_f32 v5, v36, v1 :: v_dual_add_f32 v7, v37, v1
	v_add_f32_e32 v32, v71, v1
	s_delay_alu instid0(VALU_DEP_3) | instskip(NEXT) | instid1(VALU_DEP_3)
	v_dual_add_f32 v33, v35, v0 :: v_dual_add_f32 v2, 0x40051340, v6
	v_dual_add_f32 v0, 0x40051340, v4 :: v_dual_add_f32 v1, 0x40051340, v5
	s_delay_alu instid0(VALU_DEP_3) | instskip(SKIP_1) | instid1(VALU_DEP_3)
	v_dual_add_f32 v3, 0x40051340, v7 :: v_dual_add_f32 v36, 0x40051340, v32
	v_add_f32_e32 v35, 0x40051340, v8
	v_max3_num_f32 v0, v67, v0, v1
	s_delay_alu instid0(VALU_DEP_3) | instskip(NEXT) | instid1(VALU_DEP_3)
	v_max3_num_f32 v1, v68, v2, v3
	v_max3_num_f32 v2, v69, v35, v36
	ds_bpermute_b32 v35, v31, v0
	ds_bpermute_b32 v36, v31, v1
	v_add_f32_e32 v37, 0x40051340, v33
	s_wait_dscnt 0x1
	v_max_num_f32_e32 v35, v35, v35
	s_wait_dscnt 0x0
	v_dual_add_f32 v71, 0x40051340, v34 :: v_dual_max_num_f32 v36, v36, v36
	s_delay_alu instid0(VALU_DEP_2) | instskip(NEXT) | instid1(VALU_DEP_2)
	v_max_num_f32_e32 v0, v0, v35
	v_max3_num_f32 v3, v70, v37, v71
	ds_bpermute_b32 v37, v31, v2
	v_max_num_f32_e32 v1, v1, v36
	ds_bpermute_b32 v31, v31, v3
	ds_bpermute_b32 v35, v30, v1
	s_wait_dscnt 0x1
	v_dual_max_num_f32 v37, v37, v37 :: v_dual_max_num_f32 v31, v31, v31
	s_delay_alu instid0(VALU_DEP_1)
	v_max_num_f32_e32 v2, v2, v37
	ds_bpermute_b32 v36, v30, v2
	v_max_num_f32_e32 v3, v3, v31
	ds_bpermute_b32 v31, v30, v0
	s_wait_dscnt 0x1
	v_max_num_f32_e32 v36, v36, v36
	ds_bpermute_b32 v30, v30, v3
	s_wait_dscnt 0x1
	v_max_num_f32_e32 v31, v31, v31
	v_dual_max_num_f32 v35, v35, v35 :: v_dual_max_num_f32 v2, v2, v36
	s_wait_dscnt 0x0
	s_delay_alu instid0(VALU_DEP_2) | instskip(NEXT) | instid1(VALU_DEP_1)
	v_dual_max_num_f32 v30, v30, v30 :: v_dual_max_num_f32 v0, v0, v31
	v_max_num_f32_e32 v3, v3, v30
	ds_bpermute_b32 v30, v11, v0
	v_max_num_f32_e32 v1, v1, v35
	ds_bpermute_b32 v35, v11, v2
	s_wait_dscnt 0x1
	v_max_num_f32_e32 v30, v30, v30
	ds_bpermute_b32 v31, v11, v1
	ds_bpermute_b32 v11, v11, v3
	s_wait_dscnt 0x1
	v_dual_max_num_f32 v0, v0, v30 :: v_dual_max_num_f32 v31, v31, v31
	s_wait_dscnt 0x0
	v_max_num_f32_e32 v11, v11, v11
	s_delay_alu instid0(VALU_DEP_2) | instskip(NEXT) | instid1(VALU_DEP_2)
	v_max_num_f32_e32 v1, v1, v31
	v_max_num_f32_e32 v3, v3, v11
	ds_bpermute_b32 v11, v10, v0
	ds_bpermute_b32 v30, v10, v1
	v_max_num_f32_e32 v35, v35, v35
	s_wait_dscnt 0x0
	v_dual_max_num_f32 v11, v11, v11 :: v_dual_max_num_f32 v30, v30, v30
	s_delay_alu instid0(VALU_DEP_2) | instskip(NEXT) | instid1(VALU_DEP_2)
	v_max_num_f32_e32 v2, v2, v35
	v_max_num_f32_e32 v0, v0, v11
	ds_bpermute_b32 v31, v10, v2
	ds_bpermute_b32 v10, v10, v3
	s_wait_dscnt 0x0
	v_dual_max_num_f32 v31, v31, v31 :: v_dual_max_num_f32 v10, v10, v10
	s_delay_alu instid0(VALU_DEP_1) | instskip(NEXT) | instid1(VALU_DEP_2)
	v_dual_max_num_f32 v1, v1, v30 :: v_dual_max_num_f32 v2, v2, v31
	v_max_num_f32_e32 v3, v3, v10
	ds_bpermute_b32 v10, v9, v0
	ds_bpermute_b32 v11, v9, v1
	;; [unrolled: 1-line block ×4, first 2 shown]
	s_wait_dscnt 0x2
	v_dual_max_num_f32 v10, v10, v10 :: v_dual_max_num_f32 v11, v11, v11
	s_wait_dscnt 0x0
	v_dual_max_num_f32 v30, v30, v30 :: v_dual_max_num_f32 v9, v9, v9
	s_delay_alu instid0(VALU_DEP_2) | instskip(NEXT) | instid1(VALU_DEP_2)
	v_dual_max_num_f32 v0, v0, v10 :: v_dual_max_num_f32 v1, v1, v11
	v_dual_max_num_f32 v2, v2, v30 :: v_dual_max_num_f32 v3, v3, v9
	s_delay_alu instid0(VALU_DEP_2) | instskip(NEXT) | instid1(VALU_DEP_3)
	v_dual_sub_f32 v4, v4, v0 :: v_dual_sub_f32 v5, v5, v0
	v_dual_sub_f32 v6, v6, v1 :: v_dual_sub_f32 v7, v7, v1
	s_delay_alu instid0(VALU_DEP_3) | instskip(NEXT) | instid1(VALU_DEP_3)
	v_dual_sub_f32 v8, v8, v2 :: v_dual_sub_f32 v11, v34, v3
	v_dual_mul_f32 v30, 0x3fb8aa3b, v4 :: v_dual_mul_f32 v31, 0x3fb8aa3b, v5
	v_dual_sub_f32 v9, v32, v2 :: v_dual_sub_f32 v10, v33, v3
	s_delay_alu instid0(VALU_DEP_4) | instskip(NEXT) | instid1(VALU_DEP_4)
	v_dual_mul_f32 v32, 0x3fb8aa3b, v6 :: v_dual_mul_f32 v33, 0x3fb8aa3b, v7
	v_mul_f32_e32 v34, 0x3fb8aa3b, v8
	s_delay_alu instid0(VALU_DEP_4)
	v_fma_f32 v71, 0x3fb8aa3b, v4, -v30
	v_fma_f32 v72, 0x3fb8aa3b, v5, -v31
	v_rndne_f32_e32 v87, v30
	v_rndne_f32_e32 v88, v31
	v_fma_f32 v73, 0x3fb8aa3b, v6, -v32
	v_fma_f32 v82, 0x3fb8aa3b, v7, -v33
	v_rndne_f32_e32 v89, v32
	v_dual_fmac_f32 v71, 0x32a5705f, v4 :: v_dual_fmac_f32 v72, 0x32a5705f, v5
	v_dual_sub_f32 v30, v30, v87 :: v_dual_sub_f32 v31, v31, v88
	v_dual_mul_f32 v35, 0x3fb8aa3b, v9 :: v_dual_mul_f32 v36, 0x3fb8aa3b, v10
	s_delay_alu instid0(VALU_DEP_4) | instskip(SKIP_1) | instid1(VALU_DEP_4)
	v_dual_mul_f32 v37, 0x3fb8aa3b, v11 :: v_dual_sub_f32 v32, v32, v89
	v_dual_fmac_f32 v73, 0x32a5705f, v6 :: v_dual_fmac_f32 v82, 0x32a5705f, v7
	v_add_f32_e32 v31, v31, v72
	v_fma_f32 v83, 0x3fb8aa3b, v8, -v34
	v_fma_f32 v84, 0x3fb8aa3b, v9, -v35
	;; [unrolled: 1-line block ×4, first 2 shown]
	v_rndne_f32_e32 v90, v33
	v_rndne_f32_e32 v91, v34
	;; [unrolled: 1-line block ×5, first 2 shown]
	v_add_f32_e32 v32, v32, v73
	v_exp_f32_e32 v31, v31
	v_dual_fmac_f32 v83, 0x32a5705f, v8 :: v_dual_fmac_f32 v84, 0x32a5705f, v9
	v_dual_fmac_f32 v85, 0x32a5705f, v10 :: v_dual_fmac_f32 v86, 0x32a5705f, v11
	v_dual_sub_f32 v33, v33, v90 :: v_dual_sub_f32 v34, v34, v91
	v_dual_sub_f32 v35, v35, v92 :: v_dual_sub_f32 v36, v36, v93
	v_dual_sub_f32 v37, v37, v94 :: v_dual_add_f32 v30, v30, v71
	v_cvt_i32_f32_e32 v88, v88
	s_delay_alu instid0(VALU_DEP_4) | instskip(NEXT) | instid1(VALU_DEP_4)
	v_dual_add_f32 v33, v33, v82 :: v_dual_add_f32 v34, v34, v83
	v_dual_add_f32 v35, v35, v84 :: v_dual_add_f32 v36, v36, v85
	s_delay_alu instid0(VALU_DEP_3)
	v_ldexp_f32 v31, v31, v88
	v_cmp_ngt_f32_e64 s8, 0xc2ce8ed0, v5
	v_add_f32_e32 v37, v37, v86
	v_exp_f32_e32 v30, v30
	v_exp_f32_e32 v32, v32
	v_exp_f32_e32 v33, v33
	v_exp_f32_e32 v34, v34
	v_exp_f32_e32 v35, v35
	v_exp_f32_e32 v36, v36
	v_cndmask_b32_e64 v71, 0, v31, s8
	v_exp_f32_e32 v37, v37
	v_cvt_i32_f32_e32 v87, v87
	v_cvt_i32_f32_e32 v89, v89
	;; [unrolled: 1-line block ×7, first 2 shown]
	v_ldexp_f32 v32, v32, v89
	v_cmp_ngt_f32_e32 vcc_lo, 0xc2ce8ed0, v6
	v_ldexp_f32 v33, v33, v90
	v_cmp_ngt_f32_e64 s2, 0xc2ce8ed0, v7
	v_ldexp_f32 v34, v34, v91
	v_cmp_ngt_f32_e64 s3, 0xc2ce8ed0, v8
	;; [unrolled: 2-line block ×6, first 2 shown]
	v_cmp_nlt_f32_e64 s8, 0x42b17218, v5
	v_cndmask_b32_e32 v5, 0, v32, vcc_lo
	v_cmp_nlt_f32_e32 vcc_lo, 0x42b17218, v6
	v_cndmask_b32_e64 v6, 0, v33, s2
	v_cmp_nlt_f32_e64 s2, 0x42b17218, v7
	v_cndmask_b32_e64 v7, 0, v34, s3
	v_cmp_nlt_f32_e64 s3, 0x42b17218, v8
	;; [unrolled: 2-line block ×3, first 2 shown]
	v_dual_cndmask_b32 v9, 0, v36, s5 :: v_dual_cndmask_b32 v30, 0, v30, s7
	v_cmp_nlt_f32_e64 s5, 0x42b17218, v10
	v_cndmask_b32_e64 v10, 0, v37, s6
	v_cmp_nlt_f32_e64 s6, 0x42b17218, v11
	v_cmp_nlt_f32_e64 s7, 0x42b17218, v4
	v_cndmask_b32_e32 v31, 0x7f800000, v5, vcc_lo
	v_cndmask_b32_e64 v32, 0x7f800000, v7, s3
	v_cndmask_b32_e64 v33, 0x7f800000, v9, s5
	;; [unrolled: 1-line block ×7, first 2 shown]
	v_cvt_pk_f16_f32 v5, v32, v33
	v_cvt_pk_f16_f32 v4, v30, v31
	s_delay_alu instid0(VALU_DEP_4) | instskip(NEXT) | instid1(VALU_DEP_4)
	v_cvt_pk_f16_f32 v6, v36, v37
	v_cvt_pk_f16_f32 v7, v34, v35
	ds_store_2addr_b64 v54, v[4:5], v[6:7] offset1:32
	s_wait_loadcnt 0x1
	ds_store_b128 v52, v[74:77]
	s_wait_loadcnt 0x0
	ds_store_b128 v53, v[78:81]
	s_wait_dscnt 0x0
	s_barrier_signal -1
	s_barrier_wait -1
	ds_load_b128 v[8:11], v51
	ds_load_b128 v[4:7], v51 offset:16
	ds_load_b128 v[72:75], v51 offset:32
	;; [unrolled: 1-line block ×3, first 2 shown]
	s_wait_dscnt 0x3
	v_dual_lshrrev_b32 v71, 16, v8 :: v_dual_lshrrev_b32 v80, 16, v9
	v_lshrrev_b32_e32 v83, 16, v10
	v_and_b32_e32 v81, 0xffff, v8
	v_and_b32_e32 v82, 0xffff, v9
	v_lshrrev_b32_e32 v84, 16, v11
	v_and_b32_e32 v85, 0xffff, v10
	v_and_b32_e32 v86, 0xffff, v11
	s_wait_dscnt 0x2
	v_dual_lshrrev_b32 v87, 16, v4 :: v_dual_lshrrev_b32 v88, 16, v5
	v_and_b32_e32 v89, 0xffff, v4
	v_and_b32_e32 v90, 0xffff, v5
	v_dual_lshrrev_b32 v91, 16, v6 :: v_dual_lshrrev_b32 v92, 16, v7
	v_and_b32_e32 v93, 0xffff, v6
	v_and_b32_e32 v94, 0xffff, v7
	ds_load_b128 v[4:7], v51 offset:64
	ds_load_b128 v[8:11], v51 offset:80
	s_wait_dscnt 0x3
	v_dual_lshrrev_b32 v95, 16, v72 :: v_dual_lshrrev_b32 v96, 16, v73
	v_and_b32_e32 v72, 0xffff, v72
	v_and_b32_e32 v73, 0xffff, v73
	v_dual_lshrrev_b32 v97, 16, v74 :: v_dual_lshrrev_b32 v98, 16, v75
	v_and_b32_e32 v74, 0xffff, v74
	v_and_b32_e32 v75, 0xffff, v75
	s_wait_dscnt 0x2
	v_dual_lshrrev_b32 v99, 16, v76 :: v_dual_lshrrev_b32 v100, 16, v77
	v_and_b32_e32 v76, 0xffff, v76
	v_and_b32_e32 v77, 0xffff, v77
	v_dual_lshrrev_b32 v101, 16, v78 :: v_dual_lshrrev_b32 v102, 16, v79
	v_and_b32_e32 v78, 0xffff, v78
	v_and_b32_e32 v79, 0xffff, v79
	s_wait_dscnt 0x1
	v_dual_lshrrev_b32 v103, 16, v4 :: v_dual_lshrrev_b32 v104, 16, v5
	s_wait_dscnt 0x0
	v_dual_lshrrev_b32 v111, 16, v8 :: v_dual_lshrrev_b32 v112, 16, v9
	v_and_b32_e32 v113, 0xffff, v8
	v_sub_f32_e32 v8, v70, v3
	v_and_b32_e32 v114, 0xffff, v9
	v_dual_lshrrev_b32 v115, 16, v10 :: v_dual_lshrrev_b32 v116, 16, v11
	v_and_b32_e32 v117, 0xffff, v10
	s_delay_alu instid0(VALU_DEP_4)
	v_mul_f32_e32 v9, 0x3fb8aa3b, v8
	v_and_b32_e32 v118, 0xffff, v11
	v_and_b32_e32 v105, 0xffff, v4
	v_and_b32_e32 v106, 0xffff, v5
	v_pk_add_f32 v[4:5], v[30:31], v[36:37]
	v_fma_f32 v10, 0x3fb8aa3b, v8, -v9
	v_rndne_f32_e32 v11, v9
	v_dual_lshrrev_b32 v107, 16, v6 :: v_dual_lshrrev_b32 v108, 16, v7
	v_and_b32_e32 v109, 0xffff, v6
	s_delay_alu instid0(VALU_DEP_3)
	v_dual_fmac_f32 v10, 0x32a5705f, v8 :: v_dual_sub_f32 v9, v9, v11
	v_cvt_i32_f32_e32 v11, v11
	v_and_b32_e32 v110, 0xffff, v7
	v_pk_add_f32 v[6:7], v[32:33], v[34:35]
	v_mul_u32_u24_e32 v33, 0x10001, v71
	v_add_f32_e32 v9, v9, v10
	v_sub_f32_e32 v10, v69, v2
	v_cmp_ngt_f32_e32 vcc_lo, 0xc2ce8ed0, v8
	v_mul_u32_u24_e32 v35, 0x10001, v82
	v_mul_u32_u24_e32 v37, 0x10001, v80
	v_exp_f32_e32 v9, v9
	v_cmp_ngt_f32_e64 s2, 0xc2ce8ed0, v10
	s_delay_alu instid0(TRANS32_DEP_1) | instskip(NEXT) | instid1(VALU_DEP_1)
	v_ldexp_f32 v9, v9, v11
	v_dual_mul_f32 v30, 0x3fb8aa3b, v10 :: v_dual_cndmask_b32 v9, 0, v9
	s_delay_alu instid0(VALU_DEP_1) | instskip(SKIP_2) | instid1(VALU_DEP_2)
	v_fma_f32 v31, 0x3fb8aa3b, v10, -v30
	v_rndne_f32_e32 v32, v30
	v_cmp_nlt_f32_e32 vcc_lo, 0x42b17218, v8
	v_dual_fmac_f32 v31, 0x32a5705f, v10 :: v_dual_sub_f32 v30, v30, v32
	v_cndmask_b32_e32 v9, 0x7f800000, v9, vcc_lo
	v_cvt_i32_f32_e32 v11, v32
	s_delay_alu instid0(VALU_DEP_3) | instskip(NEXT) | instid1(VALU_DEP_1)
	v_add_f32_e32 v30, v30, v31
	v_exp_f32_e32 v30, v30
	v_nop
	s_delay_alu instid0(TRANS32_DEP_1) | instskip(NEXT) | instid1(VALU_DEP_1)
	v_ldexp_f32 v11, v30, v11
	v_cndmask_b32_e64 v8, 0, v11, s2
	v_cmp_nlt_f32_e64 s2, 0x42b17218, v10
	s_delay_alu instid0(VALU_DEP_1) | instskip(NEXT) | instid1(VALU_DEP_1)
	v_cndmask_b32_e64 v8, 0x7f800000, v8, s2
	v_pk_fma_f32 v[14:15], v[14:15], v[8:9], v[6:7]
	v_sub_f32_e32 v6, v68, v1
	v_cvt_f16_f32_e32 v8, v8
	s_delay_alu instid0(VALU_DEP_2) | instskip(SKIP_1) | instid1(VALU_DEP_3)
	v_mul_f32_e32 v7, 0x3fb8aa3b, v6
	v_cmp_ngt_f32_e32 vcc_lo, 0xc2ce8ed0, v6
	v_and_b32_e32 v8, 0xffff, v8
	s_delay_alu instid0(VALU_DEP_3) | instskip(SKIP_1) | instid1(VALU_DEP_3)
	v_fma_f32 v10, 0x3fb8aa3b, v6, -v7
	v_rndne_f32_e32 v11, v7
	v_mul_u32_u24_e32 v8, 0x10001, v8
	s_delay_alu instid0(VALU_DEP_2) | instskip(SKIP_1) | instid1(VALU_DEP_2)
	v_dual_fmac_f32 v10, 0x32a5705f, v6 :: v_dual_sub_f32 v7, v7, v11
	v_cvt_i32_f32_e32 v11, v11
	v_add_f32_e32 v7, v7, v10
	v_sub_f32_e32 v10, v67, v0
	s_delay_alu instid0(VALU_DEP_1) | instskip(NEXT) | instid1(VALU_DEP_3)
	v_mul_f32_e32 v30, 0x3fb8aa3b, v10
	v_exp_f32_e32 v7, v7
	v_cmp_ngt_f32_e64 s2, 0xc2ce8ed0, v10
	s_delay_alu instid0(VALU_DEP_2) | instskip(SKIP_1) | instid1(TRANS32_DEP_1)
	v_fma_f32 v31, 0x3fb8aa3b, v10, -v30
	v_rndne_f32_e32 v32, v30
	v_ldexp_f32 v7, v7, v11
	s_delay_alu instid0(VALU_DEP_2) | instskip(SKIP_1) | instid1(VALU_DEP_3)
	v_dual_fmac_f32 v31, 0x32a5705f, v10 :: v_dual_sub_f32 v30, v30, v32
	v_cvt_i32_f32_e32 v11, v32
	v_cndmask_b32_e32 v7, 0, v7, vcc_lo
	v_cmp_nlt_f32_e32 vcc_lo, 0x42b17218, v6
	s_delay_alu instid0(VALU_DEP_4) | instskip(SKIP_1) | instid1(VALU_DEP_4)
	v_add_f32_e32 v30, v30, v31
	v_mul_u32_u24_e32 v31, 0x10001, v81
	v_cndmask_b32_e32 v7, 0x7f800000, v7, vcc_lo
	s_delay_alu instid0(VALU_DEP_3) | instskip(SKIP_1) | instid1(TRANS32_DEP_1)
	v_exp_f32_e32 v30, v30
	v_nop
	v_ldexp_f32 v11, v30, v11
	s_delay_alu instid0(VALU_DEP_1) | instskip(SKIP_2) | instid1(VALU_DEP_2)
	v_cndmask_b32_e64 v6, 0, v11, s2
	v_cmp_nlt_f32_e64 s2, 0x42b17218, v10
	v_cvt_f16_f32_e32 v10, v7
	v_cndmask_b32_e64 v6, 0x7f800000, v6, s2
	s_delay_alu instid0(VALU_DEP_2) | instskip(SKIP_1) | instid1(SALU_CYCLE_1)
	v_and_b32_e32 v10, 0xffff, v10
	s_or_b32 s2, s10, 32
	s_ashr_i32 s3, s2, 31
	s_delay_alu instid0(VALU_DEP_2) | instskip(SKIP_4) | instid1(VALU_DEP_3)
	v_pk_fma_f32 v[16:17], v[16:17], v[6:7], v[4:5]
	v_cvt_f16_f32_e32 v5, v9
	v_cvt_f16_f32_e32 v4, v6
	v_mul_u32_u24_e32 v10, 0x10001, v10
	s_mul_u64 s[2:3], s[2:3], s[14:15]
	v_and_b32_e32 v5, 0xffff, v5
	s_delay_alu instid0(VALU_DEP_3) | instskip(SKIP_1) | instid1(SALU_CYCLE_1)
	v_and_b32_e32 v4, 0xffff, v4
	s_lshl_b64 s[2:3], s[2:3], 2
	s_add_nc_u64 s[2:3], s[26:27], s[2:3]
	s_delay_alu instid0(VALU_DEP_2) | instskip(NEXT) | instid1(VALU_DEP_2)
	v_mul_u32_u24_e32 v5, 0x10001, v5
	v_mul_u32_u24_e32 v30, 0x10001, v4
	s_delay_alu instid0(VALU_DEP_2)
	v_pk_mul_f16 v9, v59, v5
	v_pk_mul_f16 v11, v60, v5
	ds_load_2addr_b64 v[4:7], v55 offset1:32
	v_mul_u32_u24_e32 v60, 0x10001, v92
	s_wait_dscnt 0x0
	v_pk_mul_f16 v32, v4, v31
	v_pk_mul_f16 v34, v4, v33
	v_pk_mul_f16 v36, v4, v35
	v_pk_fma_f16 v4, v4, v37, v9
	v_pk_fma_f16 v9, v5, v37, v11
	;; [unrolled: 1-line block ×3, first 2 shown]
	v_pk_mul_f16 v30, v66, v30
	v_pk_fma_f16 v34, v63, v10, v34
	v_pk_mul_f16 v10, v64, v10
	v_pk_fma_f16 v36, v61, v8, v36
	;; [unrolled: 2-line block ×3, first 2 shown]
	v_mul_u32_u24_e32 v61, 0x10001, v93
	v_pk_fma_f16 v10, v5, v33, v10
	v_mul_u32_u24_e32 v62, 0x10001, v91
	v_pk_fma_f16 v5, v5, v35, v8
	v_mul_u32_u24_e32 v8, 0x10001, v84
	v_mul_u32_u24_e32 v35, 0x10001, v89
	s_delay_alu instid0(VALU_DEP_2) | instskip(SKIP_2) | instid1(VALU_DEP_2)
	v_pk_fma_f16 v30, v6, v8, v4
	v_mul_u32_u24_e32 v4, 0x10001, v85
	v_pk_fma_f16 v8, v7, v8, v9
	v_pk_fma_f16 v9, v7, v4, v11
	;; [unrolled: 1-line block ×3, first 2 shown]
	v_mul_u32_u24_e32 v4, 0x10001, v83
	s_delay_alu instid0(VALU_DEP_1) | instskip(SKIP_3) | instid1(VALU_DEP_2)
	v_pk_fma_f16 v10, v7, v4, v10
	v_pk_fma_f16 v31, v6, v4, v34
	v_mul_u32_u24_e32 v4, 0x10001, v86
	v_mul_u32_u24_e32 v34, 0x10001, v88
	v_pk_fma_f16 v32, v7, v4, v5
	v_pk_fma_f16 v33, v6, v4, v36
	ds_load_2addr_b64 v[4:7], v55 offset0:64 offset1:96
	v_mul_u32_u24_e32 v36, 0x10001, v87
	s_wait_dscnt 0x0
	v_pk_fma_f16 v30, v4, v34, v30
	v_pk_fma_f16 v37, v5, v35, v9
	s_delay_alu instid0(VALU_DEP_3)
	v_pk_fma_f16 v59, v5, v36, v10
	v_pk_fma_f16 v34, v5, v34, v8
	;; [unrolled: 1-line block ×4, first 2 shown]
	v_mul_u32_u24_e32 v36, 0x10001, v90
	ds_load_b128 v[8:11], v51 offset:96
	v_pk_fma_f16 v34, v7, v60, v34
	v_pk_fma_f16 v37, v7, v61, v37
	;; [unrolled: 1-line block ×7, first 2 shown]
	ds_load_b128 v[30:33], v51 offset:112
	v_mul_u32_u24_e32 v61, 0x10001, v94
	v_pk_fma_f16 v59, v7, v62, v59
	s_delay_alu instid0(VALU_DEP_2)
	v_pk_fma_f16 v62, v7, v61, v5
	v_pk_fma_f16 v61, v6, v61, v4
	ds_load_2addr_b64 v[4:7], v55 offset0:128 offset1:160
	s_wait_dscnt 0x2
	v_lshrrev_b32_e32 v63, 16, v8
	v_and_b32_e32 v65, 0xffff, v8
	v_dual_lshrrev_b32 v67, 16, v10 :: v_dual_lshrrev_b32 v68, 16, v11
	v_and_b32_e32 v69, 0xffff, v10
	v_mul_u32_u24_e32 v8, 0x10001, v96
	v_mul_u32_u24_e32 v10, 0x10001, v72
	s_wait_dscnt 0x1
	v_dual_lshrrev_b32 v64, 16, v9 :: v_dual_lshrrev_b32 v71, 16, v30
	v_dual_lshrrev_b32 v80, 16, v31 :: v_dual_lshrrev_b32 v83, 16, v32
	v_and_b32_e32 v81, 0xffff, v30
	v_and_b32_e32 v85, 0xffff, v32
	v_mul_u32_u24_e32 v30, 0x10001, v95
	v_mul_u32_u24_e32 v32, 0x10001, v73
	v_and_b32_e32 v66, 0xffff, v9
	v_and_b32_e32 v70, 0xffff, v11
	;; [unrolled: 1-line block ×3, first 2 shown]
	s_wait_dscnt 0x0
	v_pk_fma_f16 v9, v4, v8, v36
	v_pk_fma_f16 v8, v5, v8, v34
	;; [unrolled: 1-line block ×8, first 2 shown]
	v_mul_u32_u24_e32 v32, 0x10001, v98
	v_lshrrev_b32_e32 v84, 16, v33
	v_and_b32_e32 v86, 0xffff, v33
	v_mul_u32_u24_e32 v34, 0x10001, v100
	v_mul_u32_u24_e32 v35, 0x10001, v76
	v_pk_fma_f16 v9, v6, v32, v9
	v_pk_fma_f16 v8, v7, v32, v8
	v_mul_u32_u24_e32 v32, 0x10001, v74
	v_mul_u32_u24_e32 v36, 0x10001, v99
	;; [unrolled: 1-line block ×5, first 2 shown]
	v_pk_fma_f16 v11, v7, v32, v11
	v_pk_fma_f16 v10, v6, v32, v10
	v_mul_u32_u24_e32 v32, 0x10001, v97
	s_delay_alu instid0(VALU_DEP_1) | instskip(SKIP_2) | instid1(VALU_DEP_1)
	v_pk_fma_f16 v31, v7, v32, v31
	v_pk_fma_f16 v30, v6, v32, v30
	v_mul_u32_u24_e32 v32, 0x10001, v75
	v_pk_fma_f16 v33, v7, v32, v5
	v_pk_fma_f16 v32, v6, v32, v4
	ds_load_2addr_b64 v[4:7], v55 offset0:192 offset1:224
	s_wait_dscnt 0x0
	v_pk_fma_f16 v37, v4, v34, v9
	v_pk_fma_f16 v59, v5, v35, v11
	;; [unrolled: 1-line block ×6, first 2 shown]
	v_mul_u32_u24_e32 v36, 0x10001, v77
	ds_load_b128 v[8:11], v51 offset:128
	v_pk_fma_f16 v34, v7, v60, v34
	v_pk_fma_f16 v35, v6, v61, v35
	;; [unrolled: 1-line block ×8, first 2 shown]
	ds_load_b128 v[30:33], v51 offset:144
	v_mul_u32_u24_e32 v61, 0x10001, v79
	s_delay_alu instid0(VALU_DEP_1)
	v_pk_fma_f16 v62, v7, v61, v5
	v_pk_fma_f16 v61, v6, v61, v4
	ds_load_2addr_b64 v[4:7], v56 offset1:32
	s_wait_dscnt 0x2
	v_dual_lshrrev_b32 v72, 16, v8 :: v_dual_lshrrev_b32 v73, 16, v9
	v_and_b32_e32 v74, 0xffff, v8
	v_dual_lshrrev_b32 v76, 16, v10 :: v_dual_lshrrev_b32 v77, 16, v11
	v_and_b32_e32 v78, 0xffff, v10
	v_mul_u32_u24_e32 v8, 0x10001, v104
	v_mul_u32_u24_e32 v10, 0x10001, v105
	v_and_b32_e32 v75, 0xffff, v9
	v_and_b32_e32 v79, 0xffff, v11
	s_wait_dscnt 0x1
	v_dual_lshrrev_b32 v87, 16, v30 :: v_dual_lshrrev_b32 v88, 16, v31
	v_and_b32_e32 v89, 0xffff, v30
	v_dual_lshrrev_b32 v91, 16, v32 :: v_dual_lshrrev_b32 v92, 16, v33
	v_and_b32_e32 v93, 0xffff, v32
	v_mul_u32_u24_e32 v30, 0x10001, v103
	v_mul_u32_u24_e32 v32, 0x10001, v106
	v_and_b32_e32 v90, 0xffff, v31
	s_wait_dscnt 0x0
	v_pk_fma_f16 v9, v4, v8, v36
	v_pk_fma_f16 v8, v5, v8, v34
	;; [unrolled: 1-line block ×8, first 2 shown]
	v_mul_u32_u24_e32 v32, 0x10001, v108
	v_and_b32_e32 v94, 0xffff, v33
	v_mul_u32_u24_e32 v34, 0x10001, v112
	v_mul_u32_u24_e32 v35, 0x10001, v113
	v_mul_u32_u24_e32 v36, 0x10001, v111
	v_pk_fma_f16 v9, v6, v32, v9
	v_pk_fma_f16 v8, v7, v32, v8
	v_mul_u32_u24_e32 v32, 0x10001, v109
	v_mul_u32_u24_e32 v60, 0x10001, v116
	;; [unrolled: 1-line block ×4, first 2 shown]
	s_delay_alu instid0(VALU_DEP_4) | instskip(SKIP_2) | instid1(VALU_DEP_1)
	v_pk_fma_f16 v11, v7, v32, v11
	v_pk_fma_f16 v10, v6, v32, v10
	v_mul_u32_u24_e32 v32, 0x10001, v107
	v_pk_fma_f16 v31, v7, v32, v31
	v_pk_fma_f16 v30, v6, v32, v30
	v_mul_u32_u24_e32 v32, 0x10001, v110
	s_delay_alu instid0(VALU_DEP_1)
	v_pk_fma_f16 v33, v7, v32, v5
	v_pk_fma_f16 v32, v6, v32, v4
	ds_load_2addr_b64 v[4:7], v56 offset0:64 offset1:96
	s_wait_dscnt 0x0
	v_pk_fma_f16 v37, v4, v34, v9
	v_pk_fma_f16 v59, v5, v35, v11
	;; [unrolled: 1-line block ×6, first 2 shown]
	v_mul_u32_u24_e32 v36, 0x10001, v114
	ds_load_b128 v[8:11], v51 offset:160
	v_pk_fma_f16 v34, v7, v60, v34
	v_pk_fma_f16 v35, v6, v61, v35
	;; [unrolled: 1-line block ×8, first 2 shown]
	ds_load_b128 v[30:33], v51 offset:176
	v_mul_u32_u24_e32 v61, 0x10001, v118
	s_delay_alu instid0(VALU_DEP_1)
	v_pk_fma_f16 v62, v7, v61, v5
	v_pk_fma_f16 v61, v6, v61, v4
	ds_load_2addr_b64 v[4:7], v56 offset0:128 offset1:160
	s_wait_dscnt 0x2
	v_dual_lshrrev_b32 v95, 16, v8 :: v_dual_lshrrev_b32 v96, 16, v9
	v_and_b32_e32 v97, 0xffff, v8
	v_dual_lshrrev_b32 v99, 16, v10 :: v_dual_lshrrev_b32 v100, 16, v11
	v_and_b32_e32 v101, 0xffff, v10
	v_mul_u32_u24_e32 v8, 0x10001, v64
	v_mul_u32_u24_e32 v10, 0x10001, v65
	v_and_b32_e32 v98, 0xffff, v9
	v_and_b32_e32 v102, 0xffff, v11
	s_wait_dscnt 0x1
	v_dual_lshrrev_b32 v103, 16, v30 :: v_dual_lshrrev_b32 v104, 16, v31
	v_and_b32_e32 v105, 0xffff, v30
	v_dual_lshrrev_b32 v107, 16, v32 :: v_dual_lshrrev_b32 v108, 16, v33
	v_and_b32_e32 v109, 0xffff, v32
	v_mul_u32_u24_e32 v30, 0x10001, v63
	v_mul_u32_u24_e32 v32, 0x10001, v66
	v_and_b32_e32 v106, 0xffff, v31
	s_wait_dscnt 0x0
	v_pk_fma_f16 v9, v4, v8, v36
	v_pk_fma_f16 v8, v5, v8, v34
	v_pk_fma_f16 v11, v5, v10, v37
	v_pk_fma_f16 v10, v4, v10, v35
	v_pk_fma_f16 v31, v5, v30, v59
	v_pk_fma_f16 v30, v4, v30, v60
	v_pk_fma_f16 v5, v5, v32, v62
	v_pk_fma_f16 v4, v4, v32, v61
	v_mul_u32_u24_e32 v32, 0x10001, v68
	v_and_b32_e32 v110, 0xffff, v33
	v_mul_u32_u24_e32 v34, 0x10001, v80
	v_mul_u32_u24_e32 v35, 0x10001, v81
	v_mul_u32_u24_e32 v36, 0x10001, v71
	v_pk_fma_f16 v9, v6, v32, v9
	v_pk_fma_f16 v8, v7, v32, v8
	v_mul_u32_u24_e32 v32, 0x10001, v69
	v_mul_u32_u24_e32 v60, 0x10001, v84
	;; [unrolled: 1-line block ×4, first 2 shown]
	s_delay_alu instid0(VALU_DEP_4) | instskip(SKIP_2) | instid1(VALU_DEP_1)
	v_pk_fma_f16 v11, v7, v32, v11
	v_pk_fma_f16 v10, v6, v32, v10
	v_mul_u32_u24_e32 v32, 0x10001, v67
	v_pk_fma_f16 v31, v7, v32, v31
	v_pk_fma_f16 v30, v6, v32, v30
	v_mul_u32_u24_e32 v32, 0x10001, v70
	s_delay_alu instid0(VALU_DEP_1)
	v_pk_fma_f16 v33, v7, v32, v5
	v_pk_fma_f16 v32, v6, v32, v4
	ds_load_2addr_b64 v[4:7], v56 offset0:192 offset1:224
	s_wait_dscnt 0x0
	v_pk_fma_f16 v37, v4, v34, v9
	v_pk_fma_f16 v59, v5, v35, v11
	;; [unrolled: 1-line block ×6, first 2 shown]
	v_mul_u32_u24_e32 v36, 0x10001, v82
	ds_load_b128 v[8:11], v51 offset:192
	v_pk_fma_f16 v34, v7, v60, v34
	v_pk_fma_f16 v35, v6, v61, v35
	v_pk_fma_f16 v5, v5, v36, v33
	v_pk_fma_f16 v4, v4, v36, v32
	v_pk_fma_f16 v36, v6, v60, v37
	v_pk_fma_f16 v37, v7, v61, v59
	v_pk_fma_f16 v59, v7, v62, v31
	v_pk_fma_f16 v60, v6, v62, v30
	ds_load_b128 v[30:33], v51 offset:208
	v_mul_u32_u24_e32 v61, 0x10001, v86
	s_delay_alu instid0(VALU_DEP_1)
	v_pk_fma_f16 v62, v7, v61, v5
	v_pk_fma_f16 v61, v6, v61, v4
	ds_load_2addr_b64 v[4:7], v57 offset1:32
	s_wait_dscnt 0x2
	v_dual_lshrrev_b32 v63, 16, v8 :: v_dual_lshrrev_b32 v66, 16, v9
	v_and_b32_e32 v67, 0xffff, v8
	v_dual_lshrrev_b32 v71, 16, v10 :: v_dual_lshrrev_b32 v80, 16, v11
	v_and_b32_e32 v81, 0xffff, v10
	v_mul_u32_u24_e32 v8, 0x10001, v73
	v_mul_u32_u24_e32 v10, 0x10001, v74
	v_and_b32_e32 v70, 0xffff, v9
	v_and_b32_e32 v82, 0xffff, v11
	s_wait_dscnt 0x1
	v_dual_lshrrev_b32 v83, 16, v30 :: v_dual_lshrrev_b32 v84, 16, v31
	v_and_b32_e32 v85, 0xffff, v30
	v_dual_lshrrev_b32 v111, 16, v32 :: v_dual_lshrrev_b32 v112, 16, v33
	v_and_b32_e32 v113, 0xffff, v32
	v_mul_u32_u24_e32 v30, 0x10001, v72
	v_mul_u32_u24_e32 v32, 0x10001, v75
	v_and_b32_e32 v86, 0xffff, v31
	s_wait_dscnt 0x0
	v_pk_fma_f16 v9, v4, v8, v36
	v_pk_fma_f16 v8, v5, v8, v34
	;; [unrolled: 1-line block ×8, first 2 shown]
	v_mul_u32_u24_e32 v32, 0x10001, v77
	v_and_b32_e32 v114, 0xffff, v33
	v_mul_u32_u24_e32 v34, 0x10001, v88
	v_mul_u32_u24_e32 v35, 0x10001, v89
	v_mul_u32_u24_e32 v36, 0x10001, v87
	v_pk_fma_f16 v9, v6, v32, v9
	v_pk_fma_f16 v8, v7, v32, v8
	v_mul_u32_u24_e32 v32, 0x10001, v78
	v_mul_u32_u24_e32 v60, 0x10001, v92
	v_mul_u32_u24_e32 v61, 0x10001, v93
	v_mul_u32_u24_e32 v62, 0x10001, v91
	v_mul_u32_u24_e32 v89, 0x10001, v109
	v_pk_fma_f16 v11, v7, v32, v11
	v_pk_fma_f16 v10, v6, v32, v10
	v_mul_u32_u24_e32 v32, 0x10001, v76
	v_mul_u32_u24_e32 v88, 0x10001, v108
	;; [unrolled: 7-line block ×3, first 2 shown]
	v_mul_u32_u24_e32 v82, 0x10001, v82
	v_mul_u32_u24_e32 v83, 0x10001, v83
	v_mul_u32_u24_e32 v93, 0x10001, v111
	v_pk_fma_f16 v33, v7, v32, v5
	v_pk_fma_f16 v32, v6, v32, v4
	ds_load_2addr_b64 v[4:7], v57 offset0:64 offset1:96
	s_wait_dscnt 0x0
	v_pk_fma_f16 v37, v4, v34, v9
	v_pk_fma_f16 v59, v5, v35, v11
	;; [unrolled: 1-line block ×5, first 2 shown]
	v_mul_u32_u24_e32 v36, 0x10001, v90
	v_pk_fma_f16 v34, v5, v34, v8
	ds_load_b128 v[8:11], v51 offset:224
	v_pk_fma_f16 v35, v6, v61, v35
	v_mul_u32_u24_e32 v90, 0x10001, v107
	v_pk_fma_f16 v5, v5, v36, v33
	v_pk_fma_f16 v4, v4, v36, v32
	;; [unrolled: 1-line block ×4, first 2 shown]
	v_mul_u32_u24_e32 v61, 0x10001, v94
	v_pk_fma_f16 v34, v7, v60, v34
	v_pk_fma_f16 v59, v7, v62, v31
	;; [unrolled: 1-line block ×3, first 2 shown]
	ds_load_b128 v[30:33], v51 offset:240
	v_pk_fma_f16 v62, v7, v61, v5
	v_pk_fma_f16 v61, v6, v61, v4
	ds_load_2addr_b64 v[4:7], v57 offset0:128 offset1:160
	v_mul_u32_u24_e32 v94, 0x10001, v114
	s_wait_dscnt 0x2
	v_dual_lshrrev_b32 v72, 16, v8 :: v_dual_lshrrev_b32 v73, 16, v9
	v_and_b32_e32 v74, 0xffff, v8
	v_mul_u32_u24_e32 v8, 0x10001, v96
	v_and_b32_e32 v75, 0xffff, v9
	v_dual_lshrrev_b32 v76, 16, v10 :: v_dual_lshrrev_b32 v77, 16, v11
	v_and_b32_e32 v78, 0xffff, v10
	v_mul_u32_u24_e32 v10, 0x10001, v97
	v_and_b32_e32 v79, 0xffff, v11
	v_mul_u32_u24_e32 v73, 0x10001, v73
	v_mul_u32_u24_e32 v74, 0x10001, v74
	;; [unrolled: 1-line block ×4, first 2 shown]
	s_wait_dscnt 0x0
	v_pk_fma_f16 v9, v4, v8, v36
	v_pk_fma_f16 v8, v5, v8, v34
	v_mul_u32_u24_e32 v34, 0x10001, v95
	v_mul_u32_u24_e32 v36, 0x10001, v98
	v_pk_fma_f16 v11, v5, v10, v37
	v_pk_fma_f16 v10, v4, v10, v35
	v_mul_u32_u24_e32 v37, 0x10001, v100
	v_pk_fma_f16 v35, v5, v34, v59
	v_pk_fma_f16 v34, v4, v34, v60
	;; [unrolled: 1-line block ×4, first 2 shown]
	v_add_nc_u64_e32 v[4:5], s[2:3], v[24:25]
	v_pk_fma_f16 v60, v6, v37, v9
	v_pk_fma_f16 v37, v7, v37, v8
	v_mul_u32_u24_e32 v8, 0x10001, v101
	v_mul_u32_u24_e32 v9, 0x10001, v99
	;; [unrolled: 1-line block ×4, first 2 shown]
	v_add_nc_u64_e32 v[64:65], v[4:5], v[26:27]
	v_mul_u32_u24_e32 v4, 0x10001, v102
	v_pk_fma_f16 v11, v7, v8, v11
	v_pk_fma_f16 v35, v7, v9, v35
	v_pk_fma_f16 v10, v6, v8, v10
	v_pk_fma_f16 v34, v6, v9, v34
	v_pk_fma_f16 v59, v7, v4, v59
	v_pk_fma_f16 v36, v6, v4, v36
	ds_load_2addr_b64 v[4:7], v57 offset0:192 offset1:224
	v_add_nc_u64_e32 v[8:9], s[2:3], v[28:29]
	v_mul_u32_u24_e32 v78, 0x10001, v78
	v_mul_u32_u24_e32 v76, 0x10001, v76
	;; [unrolled: 1-line block ×3, first 2 shown]
	s_delay_alu instid0(VALU_DEP_4) | instskip(SKIP_3) | instid1(VALU_DEP_2)
	v_add_nc_u64_e32 v[68:69], v[8:9], v[26:27]
	v_mul_u32_u24_e32 v8, 0x10001, v104
	v_mul_u32_u24_e32 v9, 0x10001, v105
	s_wait_dscnt 0x0
	v_pk_fma_f16 v60, v4, v8, v60
	s_delay_alu instid0(VALU_DEP_2)
	v_pk_fma_f16 v62, v5, v9, v11
	v_pk_fma_f16 v37, v5, v8, v37
	v_pk_fma_f16 v87, v4, v9, v10
	ds_load_2addr_b64 v[8:11], v58 offset1:32
	v_pk_fma_f16 v35, v5, v61, v35
	v_pk_fma_f16 v34, v4, v61, v34
	v_mul_u32_u24_e32 v61, 0x10001, v106
	v_pk_fma_f16 v87, v6, v89, v87
	s_delay_alu instid0(VALU_DEP_2)
	v_pk_fma_f16 v5, v5, v61, v59
	v_pk_fma_f16 v4, v4, v61, v36
	;; [unrolled: 1-line block ×3, first 2 shown]
	v_mul_u32_u24_e32 v89, 0x10001, v110
	v_pk_fma_f16 v59, v6, v88, v60
	v_pk_fma_f16 v60, v7, v88, v37
	v_pk_fma_f16 v62, v7, v90, v35
	v_pk_fma_f16 v88, v6, v90, v34
	v_pk_fma_f16 v90, v7, v89, v5
	v_pk_fma_f16 v89, v6, v89, v4
	ds_load_2addr_b64 v[34:37], v58 offset0:64 offset1:96
	ds_load_2addr_b64 v[4:7], v58 offset0:128 offset1:160
	s_wait_dscnt 0x2
	v_pk_fma_f16 v91, v9, v67, v61
	v_pk_fma_f16 v87, v8, v67, v87
	v_mul_u32_u24_e32 v67, 0x10001, v70
	v_pk_fma_f16 v59, v8, v66, v59
	v_pk_fma_f16 v66, v9, v66, v60
	v_mul_u32_u24_e32 v70, 0x10001, v80
	v_pk_fma_f16 v92, v9, v63, v62
	v_pk_fma_f16 v88, v8, v63, v88
	;; [unrolled: 1-line block ×4, first 2 shown]
	v_mul_u32_u24_e32 v80, 0x10001, v81
	ds_load_2addr_b64 v[60:63], v58 offset0:192 offset1:224
	s_wait_dscnt 0x0
	s_barrier_signal -1
	s_barrier_wait -1
	v_pk_fma_f16 v59, v10, v70, v59
	v_pk_fma_f16 v70, v11, v70, v66
	global_load_b128 v[64:67], v[64:65], off
	v_pk_fma_f16 v81, v11, v80, v91
	v_pk_fma_f16 v80, v10, v80, v87
	v_pk_fma_f16 v89, v11, v71, v92
	v_pk_fma_f16 v71, v10, v71, v88
	v_pk_fma_f16 v90, v11, v82, v9
	v_pk_fma_f16 v82, v10, v82, v8
	global_load_b128 v[8:11], v[68:69], off
	s_wait_xcnt 0x0
	v_mul_u32_u24_e32 v68, 0x10001, v84
	v_mul_u32_u24_e32 v69, 0x10001, v85
	;; [unrolled: 1-line block ×5, first 2 shown]
	v_pk_fma_f16 v59, v34, v68, v59
	v_pk_fma_f16 v81, v35, v69, v81
	;; [unrolled: 1-line block ×16, first 2 shown]
	v_dual_lshrrev_b32 v87, 16, v30 :: v_dual_lshrrev_b32 v88, 16, v31
	v_and_b32_e32 v30, 0xffff, v30
	v_and_b32_e32 v31, 0xffff, v31
	v_pk_fma_f16 v36, v4, v73, v59
	v_pk_fma_f16 v59, v5, v73, v68
	;; [unrolled: 1-line block ×8, first 2 shown]
	v_dual_lshrrev_b32 v91, 16, v32 :: v_dual_lshrrev_b32 v92, 16, v33
	v_and_b32_e32 v32, 0xffff, v32
	v_and_b32_e32 v33, 0xffff, v33
	v_mul_u32_u24_e32 v88, 0x10001, v88
	v_mul_u32_u24_e32 v30, 0x10001, v30
	v_mul_u32_u24_e32 v87, 0x10001, v87
	v_mul_u32_u24_e32 v31, 0x10001, v31
	v_pk_fma_f16 v34, v6, v77, v36
	v_pk_fma_f16 v36, v7, v77, v59
	;; [unrolled: 1-line block ×8, first 2 shown]
	v_mul_u32_u24_e32 v92, 0x10001, v92
	v_mul_u32_u24_e32 v32, 0x10001, v32
	v_mul_u32_u24_e32 v91, 0x10001, v91
	v_mul_u32_u24_e32 v33, 0x10001, v33
	v_pk_fma_f16 v6, v60, v88, v34
	v_pk_fma_f16 v34, v61, v88, v36
	;; [unrolled: 1-line block ×16, first 2 shown]
	s_wait_loadcnt 0x1
	ds_store_b128 v52, v[64:67]
	s_wait_loadcnt 0x0
	ds_store_b128 v53, v[8:11]
	s_wait_dscnt 0x0
	s_barrier_signal -1
	s_barrier_wait -1
	ds_load_b128 v[8:11], v51 offset:256
	ds_load_b128 v[4:7], v51 offset:272
	;; [unrolled: 1-line block ×6, first 2 shown]
	s_wait_dscnt 0x5
	v_dual_lshrrev_b32 v75, 16, v8 :: v_dual_lshrrev_b32 v76, 16, v9
	v_and_b32_e32 v8, 0xffff, v8
	v_and_b32_e32 v77, 0xffff, v9
	s_wait_dscnt 0x4
	v_dual_lshrrev_b32 v83, 16, v6 :: v_dual_lshrrev_b32 v84, 16, v7
	v_and_b32_e32 v85, 0xffff, v6
	v_and_b32_e32 v86, 0xffff, v7
	s_wait_dscnt 0x3
	v_dual_lshrrev_b32 v87, 16, v30 :: v_dual_lshrrev_b32 v88, 16, v31
	v_and_b32_e32 v89, 0xffff, v30
	v_mul_u32_u24_e32 v30, 0x10001, v8
	ds_load_2addr_b64 v[6:9], v55 offset1:32
	v_dual_lshrrev_b32 v78, 16, v10 :: v_dual_lshrrev_b32 v79, 16, v11
	v_and_b32_e32 v10, 0xffff, v10
	v_and_b32_e32 v11, 0xffff, v11
	;; [unrolled: 1-line block ×3, first 2 shown]
	v_dual_lshrrev_b32 v91, 16, v32 :: v_dual_lshrrev_b32 v92, 16, v33
	v_and_b32_e32 v93, 0xffff, v32
	s_wait_dscnt 0x3
	v_dual_lshrrev_b32 v95, 16, v34 :: v_dual_lshrrev_b32 v96, 16, v35
	v_and_b32_e32 v97, 0xffff, v34
	v_mul_u32_u24_e32 v32, 0x10001, v75
	v_mul_u32_u24_e32 v34, 0x10001, v77
	;; [unrolled: 1-line block ×3, first 2 shown]
	v_and_b32_e32 v94, 0xffff, v33
	v_and_b32_e32 v98, 0xffff, v35
	v_dual_lshrrev_b32 v99, 16, v36 :: v_dual_lshrrev_b32 v100, 16, v37
	v_and_b32_e32 v101, 0xffff, v36
	s_wait_dscnt 0x0
	v_pk_fma_f16 v31, v6, v30, v72
	v_pk_fma_f16 v30, v7, v30, v69
	;; [unrolled: 1-line block ×6, first 2 shown]
	v_mul_u32_u24_e32 v36, 0x10001, v76
	v_pk_fma_f16 v31, v8, v10, v31
	v_pk_fma_f16 v10, v9, v10, v30
	v_mul_u32_u24_e32 v30, 0x10001, v78
	v_mul_u32_u24_e32 v11, 0x10001, v11
	v_pk_fma_f16 v6, v6, v36, v59
	v_pk_fma_f16 v7, v7, v36, v68
	v_dual_lshrrev_b32 v80, 16, v4 :: v_dual_lshrrev_b32 v81, 16, v5
	v_pk_fma_f16 v33, v8, v30, v33
	v_pk_fma_f16 v30, v9, v30, v32
	;; [unrolled: 1-line block ×4, first 2 shown]
	v_mul_u32_u24_e32 v34, 0x10001, v79
	v_and_b32_e32 v82, 0xffff, v4
	v_and_b32_e32 v5, 0xffff, v5
	v_and_b32_e32 v102, 0xffff, v37
	v_mul_u32_u24_e32 v37, 0x10001, v80
	v_pk_fma_f16 v35, v8, v34, v6
	v_pk_fma_f16 v34, v9, v34, v7
	ds_load_2addr_b64 v[6:9], v55 offset0:64 offset1:96
	v_mul_u32_u24_e32 v36, 0x10001, v82
	v_mul_u32_u24_e32 v5, 0x10001, v5
	;; [unrolled: 1-line block ×5, first 2 shown]
	v_dual_lshrrev_b32 v103, 16, v60 :: v_dual_lshrrev_b32 v104, 16, v61
	v_and_b32_e32 v60, 0xffff, v60
	v_and_b32_e32 v61, 0xffff, v61
	v_dual_lshrrev_b32 v105, 16, v62 :: v_dual_lshrrev_b32 v106, 16, v63
	v_and_b32_e32 v62, 0xffff, v62
	v_and_b32_e32 v63, 0xffff, v63
	;; [unrolled: 3-line block ×3, first 2 shown]
	v_dual_lshrrev_b32 v109, 16, v66 :: v_dual_lshrrev_b32 v4, 16, v67
	s_wait_dscnt 0x0
	v_pk_fma_f16 v59, v6, v36, v31
	v_pk_fma_f16 v10, v7, v36, v10
	v_pk_fma_f16 v36, v6, v37, v33
	v_pk_fma_f16 v37, v7, v37, v30
	v_pk_fma_f16 v68, v6, v5, v32
	v_pk_fma_f16 v5, v7, v5, v11
	v_mul_u32_u24_e32 v11, 0x10001, v81
	ds_load_b128 v[30:33], v51 offset:352
	v_pk_fma_f16 v10, v9, v69, v10
	v_pk_fma_f16 v68, v8, v71, v68
	v_and_b32_e32 v66, 0xffff, v66
	v_pk_fma_f16 v6, v6, v11, v35
	v_pk_fma_f16 v7, v7, v11, v34
	;; [unrolled: 1-line block ×6, first 2 shown]
	v_mul_u32_u24_e32 v5, 0x10001, v84
	ds_load_b128 v[34:37], v51 offset:368
	v_and_b32_e32 v67, 0xffff, v67
	v_mul_u32_u24_e32 v4, 0x10001, v4
	v_pk_fma_f16 v71, v8, v5, v6
	v_pk_fma_f16 v72, v9, v5, v7
	ds_load_2addr_b64 v[6:9], v55 offset0:128 offset1:160
	s_wait_dscnt 0x2
	v_dual_lshrrev_b32 v73, 16, v30 :: v_dual_lshrrev_b32 v74, 16, v31
	v_and_b32_e32 v75, 0xffff, v30
	v_mul_u32_u24_e32 v30, 0x10001, v89
	v_dual_lshrrev_b32 v77, 16, v32 :: v_dual_lshrrev_b32 v78, 16, v33
	v_and_b32_e32 v79, 0xffff, v32
	v_mul_u32_u24_e32 v32, 0x10001, v90
	v_and_b32_e32 v76, 0xffff, v31
	v_and_b32_e32 v80, 0xffff, v33
	s_wait_dscnt 0x1
	v_dual_lshrrev_b32 v81, 16, v34 :: v_dual_lshrrev_b32 v82, 16, v35
	v_and_b32_e32 v83, 0xffff, v34
	v_mul_u32_u24_e32 v34, 0x10001, v88
	v_and_b32_e32 v84, 0xffff, v35
	v_dual_lshrrev_b32 v85, 16, v36 :: v_dual_lshrrev_b32 v5, 16, v37
	s_wait_dscnt 0x0
	v_pk_fma_f16 v11, v6, v30, v11
	v_pk_fma_f16 v10, v7, v30, v10
	v_mul_u32_u24_e32 v30, 0x10001, v87
	v_pk_fma_f16 v33, v6, v32, v68
	v_pk_fma_f16 v32, v7, v32, v70
	v_and_b32_e32 v86, 0xffff, v36
	v_and_b32_e32 v110, 0xffff, v37
	v_pk_fma_f16 v31, v6, v30, v59
	v_pk_fma_f16 v30, v7, v30, v69
	;; [unrolled: 1-line block ×4, first 2 shown]
	v_mul_u32_u24_e32 v34, 0x10001, v93
	v_mul_u32_u24_e32 v36, 0x10001, v97
	v_mul_u32_u24_e32 v37, 0x10001, v95
	v_mul_u32_u24_e32 v59, 0x10001, v98
	v_mul_u32_u24_e32 v69, 0x10001, v96
	v_pk_fma_f16 v11, v8, v34, v11
	v_pk_fma_f16 v10, v9, v34, v10
	v_mul_u32_u24_e32 v34, 0x10001, v91
	v_mul_u32_u24_e32 v70, 0x10001, v101
	;; [unrolled: 1-line block ×5, first 2 shown]
	v_pk_fma_f16 v31, v8, v34, v31
	v_pk_fma_f16 v30, v9, v34, v30
	v_mul_u32_u24_e32 v34, 0x10001, v94
	s_delay_alu instid0(VALU_DEP_1) | instskip(SKIP_2) | instid1(VALU_DEP_1)
	v_pk_fma_f16 v33, v8, v34, v33
	v_pk_fma_f16 v32, v9, v34, v32
	v_mul_u32_u24_e32 v34, 0x10001, v92
	v_pk_fma_f16 v35, v8, v34, v6
	v_pk_fma_f16 v34, v9, v34, v7
	ds_load_2addr_b64 v[6:9], v55 offset0:192 offset1:224
	s_wait_dscnt 0x0
	v_pk_fma_f16 v11, v6, v36, v11
	v_pk_fma_f16 v10, v7, v36, v10
	;; [unrolled: 1-line block ×6, first 2 shown]
	ds_load_b128 v[30:33], v51 offset:384
	v_pk_fma_f16 v6, v6, v69, v35
	v_pk_fma_f16 v7, v7, v69, v34
	;; [unrolled: 1-line block ×6, first 2 shown]
	ds_load_b128 v[34:37], v51 offset:400
	v_mul_u32_u24_e32 v10, 0x10001, v100
	v_pk_fma_f16 v68, v8, v72, v68
	v_pk_fma_f16 v59, v9, v72, v59
	s_delay_alu instid0(VALU_DEP_3)
	v_pk_fma_f16 v72, v8, v10, v6
	v_pk_fma_f16 v7, v9, v10, v7
	ds_load_2addr_b64 v[8:11], v56 offset1:32
	s_wait_dscnt 0x2
	v_dual_lshrrev_b32 v88, 16, v30 :: v_dual_lshrrev_b32 v89, 16, v31
	v_and_b32_e32 v90, 0xffff, v30
	v_dual_lshrrev_b32 v92, 16, v32 :: v_dual_lshrrev_b32 v93, 16, v33
	v_and_b32_e32 v94, 0xffff, v32
	v_mul_u32_u24_e32 v30, 0x10001, v60
	s_wait_dscnt 0x1
	v_dual_lshrrev_b32 v96, 16, v34 :: v_dual_lshrrev_b32 v97, 16, v35
	v_and_b32_e32 v98, 0xffff, v34
	v_dual_lshrrev_b32 v100, 16, v36 :: v_dual_lshrrev_b32 v6, 16, v37
	v_and_b32_e32 v101, 0xffff, v36
	v_mul_u32_u24_e32 v32, 0x10001, v103
	v_mul_u32_u24_e32 v34, 0x10001, v61
	;; [unrolled: 1-line block ×3, first 2 shown]
	v_and_b32_e32 v91, 0xffff, v31
	v_and_b32_e32 v95, 0xffff, v33
	;; [unrolled: 1-line block ×3, first 2 shown]
	s_wait_dscnt 0x0
	v_pk_fma_f16 v31, v8, v30, v69
	v_pk_fma_f16 v30, v9, v30, v70
	v_pk_fma_f16 v33, v8, v32, v87
	v_pk_fma_f16 v32, v9, v32, v71
	v_pk_fma_f16 v35, v8, v34, v68
	v_pk_fma_f16 v34, v9, v34, v59
	v_pk_fma_f16 v7, v9, v36, v7
	v_mul_u32_u24_e32 v9, 0x10001, v62
	v_pk_fma_f16 v8, v8, v36, v72
	v_and_b32_e32 v102, 0xffff, v37
	v_mul_u32_u24_e32 v37, 0x10001, v64
	v_mul_u32_u24_e32 v59, 0x10001, v107
	v_pk_fma_f16 v31, v10, v9, v31
	v_pk_fma_f16 v30, v11, v9, v30
	v_mul_u32_u24_e32 v9, 0x10001, v105
	v_mul_u32_u24_e32 v60, 0x10001, v65
	;; [unrolled: 1-line block ×4, first 2 shown]
	s_delay_alu instid0(VALU_DEP_4) | instskip(SKIP_3) | instid1(VALU_DEP_2)
	v_pk_fma_f16 v33, v10, v9, v33
	v_pk_fma_f16 v32, v11, v9, v32
	v_mul_u32_u24_e32 v9, 0x10001, v63
	v_mul_u32_u24_e32 v63, 0x10001, v66
	v_pk_fma_f16 v35, v10, v9, v35
	v_pk_fma_f16 v34, v11, v9, v34
	v_mul_u32_u24_e32 v9, 0x10001, v106
	s_delay_alu instid0(VALU_DEP_1)
	v_pk_fma_f16 v36, v10, v9, v8
	v_pk_fma_f16 v7, v11, v9, v7
	ds_load_2addr_b64 v[8:11], v56 offset0:64 offset1:96
	s_wait_dscnt 0x0
	v_pk_fma_f16 v61, v8, v37, v31
	v_pk_fma_f16 v37, v9, v37, v30
	;; [unrolled: 1-line block ×6, first 2 shown]
	v_mul_u32_u24_e32 v60, 0x10001, v108
	ds_load_b128 v[30:33], v51 offset:416
	v_pk_fma_f16 v62, v10, v64, v62
	v_pk_fma_f16 v59, v11, v64, v59
	;; [unrolled: 1-line block ×8, first 2 shown]
	ds_load_b128 v[34:37], v51 offset:432
	v_pk_fma_f16 v65, v10, v4, v8
	v_pk_fma_f16 v4, v11, v4, v7
	ds_load_2addr_b64 v[8:11], v56 offset0:128 offset1:160
	s_wait_dscnt 0x2
	v_dual_lshrrev_b32 v66, 16, v30 :: v_dual_lshrrev_b32 v67, 16, v31
	v_and_b32_e32 v7, 0xffff, v30
	v_dual_lshrrev_b32 v69, 16, v32 :: v_dual_lshrrev_b32 v70, 16, v33
	v_and_b32_e32 v71, 0xffff, v32
	v_mul_u32_u24_e32 v30, 0x10001, v75
	v_mul_u32_u24_e32 v32, 0x10001, v73
	v_and_b32_e32 v68, 0xffff, v31
	s_wait_dscnt 0x1
	v_dual_lshrrev_b32 v87, 16, v34 :: v_dual_lshrrev_b32 v103, 16, v35
	v_and_b32_e32 v104, 0xffff, v34
	v_dual_lshrrev_b32 v106, 16, v36 :: v_dual_lshrrev_b32 v107, 16, v37
	v_and_b32_e32 v108, 0xffff, v36
	v_mul_u32_u24_e32 v34, 0x10001, v76
	v_mul_u32_u24_e32 v36, 0x10001, v74
	v_and_b32_e32 v72, 0xffff, v33
	v_and_b32_e32 v105, 0xffff, v35
	s_wait_dscnt 0x0
	v_pk_fma_f16 v31, v8, v30, v60
	v_pk_fma_f16 v30, v9, v30, v61
	;; [unrolled: 1-line block ×7, first 2 shown]
	v_mul_u32_u24_e32 v9, 0x10001, v79
	v_pk_fma_f16 v8, v8, v36, v65
	v_and_b32_e32 v109, 0xffff, v37
	v_mul_u32_u24_e32 v37, 0x10001, v83
	v_mul_u32_u24_e32 v59, 0x10001, v81
	v_pk_fma_f16 v31, v10, v9, v31
	v_pk_fma_f16 v30, v11, v9, v30
	v_mul_u32_u24_e32 v9, 0x10001, v77
	v_mul_u32_u24_e32 v60, 0x10001, v84
	;; [unrolled: 1-line block ×5, first 2 shown]
	v_pk_fma_f16 v33, v10, v9, v33
	v_pk_fma_f16 v32, v11, v9, v32
	v_mul_u32_u24_e32 v9, 0x10001, v80
	s_delay_alu instid0(VALU_DEP_1) | instskip(SKIP_2) | instid1(VALU_DEP_1)
	v_pk_fma_f16 v35, v10, v9, v35
	v_pk_fma_f16 v34, v11, v9, v34
	v_mul_u32_u24_e32 v9, 0x10001, v78
	v_pk_fma_f16 v36, v10, v9, v8
	v_pk_fma_f16 v4, v11, v9, v4
	ds_load_2addr_b64 v[8:11], v56 offset0:192 offset1:224
	s_wait_dscnt 0x0
	v_pk_fma_f16 v61, v8, v37, v31
	v_pk_fma_f16 v37, v9, v37, v30
	;; [unrolled: 1-line block ×6, first 2 shown]
	v_mul_u32_u24_e32 v60, 0x10001, v82
	ds_load_b128 v[30:33], v51 offset:448
	v_pk_fma_f16 v62, v10, v64, v62
	v_pk_fma_f16 v59, v11, v64, v59
	;; [unrolled: 1-line block ×8, first 2 shown]
	ds_load_b128 v[34:37], v51 offset:464
	v_pk_fma_f16 v65, v10, v5, v8
	v_pk_fma_f16 v4, v11, v5, v4
	ds_load_2addr_b64 v[8:11], v57 offset1:32
	v_mul_u32_u24_e32 v5, 0x10001, v90
	s_wait_dscnt 0x2
	v_dual_lshrrev_b32 v73, 16, v30 :: v_dual_lshrrev_b32 v74, 16, v31
	v_and_b32_e32 v76, 0xffff, v31
	v_dual_lshrrev_b32 v77, 16, v32 :: v_dual_lshrrev_b32 v78, 16, v33
	v_and_b32_e32 v80, 0xffff, v33
	v_mul_u32_u24_e32 v31, 0x10001, v88
	v_mul_u32_u24_e32 v33, 0x10001, v91
	v_and_b32_e32 v75, 0xffff, v30
	s_wait_dscnt 0x1
	v_dual_lshrrev_b32 v81, 16, v34 :: v_dual_lshrrev_b32 v82, 16, v35
	v_and_b32_e32 v84, 0xffff, v35
	v_mul_u32_u24_e32 v35, 0x10001, v89
	v_and_b32_e32 v79, 0xffff, v32
	v_and_b32_e32 v83, 0xffff, v34
	s_wait_dscnt 0x0
	v_pk_fma_f16 v30, v8, v5, v60
	v_pk_fma_f16 v5, v9, v5, v61
	;; [unrolled: 1-line block ×7, first 2 shown]
	v_mul_u32_u24_e32 v9, 0x10001, v94
	v_pk_fma_f16 v8, v8, v35, v65
	v_dual_lshrrev_b32 v85, 16, v36 :: v_dual_lshrrev_b32 v86, 16, v37
	v_and_b32_e32 v110, 0xffff, v36
	s_delay_alu instid0(VALU_DEP_4)
	v_pk_fma_f16 v30, v10, v9, v30
	v_pk_fma_f16 v5, v11, v9, v5
	v_mul_u32_u24_e32 v9, 0x10001, v92
	v_and_b32_e32 v111, 0xffff, v37
	v_mul_u32_u24_e32 v36, 0x10001, v98
	v_mul_u32_u24_e32 v37, 0x10001, v96
	;; [unrolled: 1-line block ×3, first 2 shown]
	v_pk_fma_f16 v32, v10, v9, v32
	v_pk_fma_f16 v31, v11, v9, v31
	v_mul_u32_u24_e32 v9, 0x10001, v95
	v_mul_u32_u24_e32 v61, 0x10001, v97
	;; [unrolled: 1-line block ×5, first 2 shown]
	v_pk_fma_f16 v34, v10, v9, v34
	v_pk_fma_f16 v33, v11, v9, v33
	v_mul_u32_u24_e32 v9, 0x10001, v93
	s_delay_alu instid0(VALU_DEP_1)
	v_pk_fma_f16 v35, v10, v9, v8
	v_pk_fma_f16 v4, v11, v9, v4
	ds_load_2addr_b64 v[8:11], v57 offset0:64 offset1:96
	s_wait_dscnt 0x0
	v_pk_fma_f16 v60, v8, v36, v30
	v_pk_fma_f16 v5, v9, v36, v5
	v_pk_fma_f16 v36, v8, v37, v32
	v_pk_fma_f16 v37, v9, v37, v31
	v_pk_fma_f16 v34, v8, v59, v34
	v_pk_fma_f16 v59, v9, v59, v33
	ds_load_b128 v[30:33], v51 offset:480
	v_pk_fma_f16 v8, v8, v61, v35
	v_pk_fma_f16 v4, v9, v61, v4
	;; [unrolled: 1-line block ×7, first 2 shown]
	ds_load_b128 v[34:37], v51 offset:496
	v_mul_u32_u24_e32 v5, 0x10001, v6
	v_pk_fma_f16 v59, v11, v64, v59
	s_delay_alu instid0(VALU_DEP_2)
	v_pk_fma_f16 v8, v10, v5, v8
	v_pk_fma_f16 v10, v11, v5, v4
	v_mul_u32_u24_e32 v11, 0x10001, v7
	ds_load_2addr_b64 v[4:7], v57 offset0:128 offset1:160
	s_wait_dscnt 0x2
	v_dual_lshrrev_b32 v64, 16, v30 :: v_dual_lshrrev_b32 v65, 16, v31
	v_and_b32_e32 v88, 0xffff, v30
	v_dual_lshrrev_b32 v90, 16, v32 :: v_dual_lshrrev_b32 v91, 16, v33
	v_and_b32_e32 v92, 0xffff, v32
	v_mul_u32_u24_e32 v30, 0x10001, v66
	v_mul_u32_u24_e32 v32, 0x10001, v68
	s_wait_dscnt 0x1
	v_dual_lshrrev_b32 v94, 16, v34 :: v_dual_lshrrev_b32 v95, 16, v35
	v_and_b32_e32 v96, 0xffff, v34
	v_mul_u32_u24_e32 v34, 0x10001, v67
	v_and_b32_e32 v89, 0xffff, v31
	v_and_b32_e32 v93, 0xffff, v33
	;; [unrolled: 1-line block ×3, first 2 shown]
	v_mul_u32_u24_e32 v35, 0x10001, v87
	v_dual_lshrrev_b32 v98, 16, v36 :: v_dual_lshrrev_b32 v99, 16, v37
	s_wait_dscnt 0x0
	v_pk_fma_f16 v9, v4, v11, v9
	v_pk_fma_f16 v11, v5, v11, v60
	;; [unrolled: 1-line block ×8, first 2 shown]
	v_mul_u32_u24_e32 v8, 0x10001, v71
	v_mul_u32_u24_e32 v10, 0x10001, v69
	v_mul_u32_u24_e32 v34, 0x10001, v104
	v_and_b32_e32 v101, 0xffff, v37
	v_and_b32_e32 v100, 0xffff, v36
	v_pk_fma_f16 v9, v6, v8, v9
	v_pk_fma_f16 v8, v7, v8, v11
	;; [unrolled: 1-line block ×4, first 2 shown]
	v_mul_u32_u24_e32 v30, 0x10001, v72
	v_mul_u32_u24_e32 v36, 0x10001, v105
	;; [unrolled: 1-line block ×5, first 2 shown]
	v_pk_fma_f16 v31, v6, v30, v33
	v_pk_fma_f16 v30, v7, v30, v32
	v_mul_u32_u24_e32 v32, 0x10001, v70
	v_mul_u32_u24_e32 v67, 0x10001, v76
	;; [unrolled: 1-line block ×5, first 2 shown]
	v_pk_fma_f16 v33, v6, v32, v4
	v_pk_fma_f16 v32, v7, v32, v5
	ds_load_2addr_b64 v[4:7], v57 offset0:192 offset1:224
	v_mul_u32_u24_e32 v71, 0x10001, v77
	v_mul_u32_u24_e32 v72, 0x10001, v80
	;; [unrolled: 1-line block ×19, first 2 shown]
	s_wait_dscnt 0x0
	v_pk_fma_f16 v37, v4, v34, v9
	v_pk_fma_f16 v34, v5, v34, v8
	;; [unrolled: 1-line block ×4, first 2 shown]
	ds_load_2addr_b64 v[8:11], v58 offset1:32
	v_pk_fma_f16 v31, v4, v36, v31
	v_pk_fma_f16 v30, v5, v36, v30
	v_mul_u32_u24_e32 v36, 0x10001, v103
	v_pk_fma_f16 v34, v7, v60, v34
	v_pk_fma_f16 v35, v7, v61, v35
	v_mul_u32_u24_e32 v91, 0x10001, v95
	v_mul_u32_u24_e32 v92, 0x10001, v100
	v_pk_fma_f16 v4, v4, v36, v33
	v_pk_fma_f16 v5, v5, v36, v32
	;; [unrolled: 1-line block ×6, first 2 shown]
	ds_load_2addr_b64 v[30:33], v58 offset0:64 offset1:96
	v_mul_u32_u24_e32 v61, 0x10001, v107
	v_mul_u32_u24_e32 v93, 0x10001, v98
	;; [unrolled: 1-line block ×3, first 2 shown]
	s_delay_alu instid0(VALU_DEP_3)
	v_pk_fma_f16 v62, v6, v61, v4
	v_pk_fma_f16 v61, v7, v61, v5
	s_wait_dscnt 0x1
	v_pk_fma_f16 v59, v8, v67, v59
	v_pk_fma_f16 v60, v9, v67, v60
	v_mul_u32_u24_e32 v67, 0x10001, v74
	ds_load_2addr_b64 v[4:7], v58 offset0:128 offset1:160
	v_pk_fma_f16 v68, v8, v63, v36
	v_pk_fma_f16 v63, v9, v63, v34
	;; [unrolled: 1-line block ×6, first 2 shown]
	v_mul_u32_u24_e32 v74, 0x10001, v83
	v_pk_fma_f16 v61, v10, v70, v68
	v_pk_fma_f16 v62, v11, v70, v63
	;; [unrolled: 1-line block ×8, first 2 shown]
	ds_load_2addr_b64 v[34:37], v58 offset0:192 offset1:224
	s_wait_dscnt 0x2
	v_pk_fma_f16 v10, v30, v74, v61
	v_pk_fma_f16 v11, v31, v74, v62
	v_pk_fma_f16 v61, v30, v75, v63
	v_pk_fma_f16 v62, v31, v75, v66
	v_pk_fma_f16 v59, v30, v76, v59
	v_pk_fma_f16 v60, v31, v76, v60
	v_pk_fma_f16 v8, v30, v77, v8
	v_pk_fma_f16 v9, v31, v77, v9
	s_wait_dscnt 0x0
	s_barrier_signal -1
	s_barrier_wait -1
	s_load_b32 s2, s[36:37], 0x4
	v_mul_u32_u24_e32 v83, 0x10001, v89
	v_pk_fma_f16 v10, v32, v78, v10
	v_pk_fma_f16 v11, v33, v78, v11
	;; [unrolled: 1-line block ×16, first 2 shown]
	v_mul_u32_u24_e32 v89, 0x10001, v94
	v_pk_fma_f16 v8, v6, v84, v10
	v_pk_fma_f16 v9, v7, v84, v11
	;; [unrolled: 1-line block ×8, first 2 shown]
	v_mul_u32_u24_e32 v94, 0x10001, v101
	v_pk_fma_f16 v6, v34, v88, v8
	v_pk_fma_f16 v7, v34, v89, v10
	;; [unrolled: 1-line block ×8, first 2 shown]
	s_wait_kmcnt 0x0
	s_lshl_b32 s2, s2, 6
	v_pk_fma_f16 v65, v36, v92, v6
	v_pk_fma_f16 v63, v36, v93, v7
	;; [unrolled: 1-line block ×8, first 2 shown]
	s_add_co_i32 s10, s2, s10
	s_delay_alu instid0(SALU_CYCLE_1)
	s_cmp_ge_i32 s10, s30
	s_cbranch_scc0 .LBB0_17
; %bb.18:
	v_dual_mov_b32 v4, 32 :: v_dual_mov_b32 v5, v41
.LBB0_19:
	s_delay_alu instid0(VALU_DEP_1)
	v_cmp_lt_i32_e32 vcc_lo, v46, v4
	s_cmp_lg_u64 s[12:13], 0
	s_cselect_b32 s2, -1, 0
	s_cmp_eq_u32 s31, 0
	v_cndmask_b32_e32 v6, v5, v46, vcc_lo
	v_cmp_lt_i32_e32 vcc_lo, v45, v4
	s_cselect_b32 s3, -1, 0
	s_delay_alu instid0(SALU_CYCLE_1)
	s_and_b32 s2, s3, s2
	v_cndmask_b32_e32 v10, v5, v45, vcc_lo
	v_cmp_lt_i32_e32 vcc_lo, v44, v4
	v_lshlrev_b32_e32 v9, 2, v6
	ds_bpermute_b32 v6, v9, v16
	ds_bpermute_b32 v7, v9, v17
	s_wait_dscnt 0x0
	v_pk_add_f32 v[6:7], v[16:17], v[6:7]
	v_cndmask_b32_e32 v16, v5, v44, vcc_lo
	ds_bpermute_b32 v8, v9, v14
	ds_bpermute_b32 v9, v9, v15
	v_lshlrev_b32_e32 v18, 2, v10
	v_cmp_lt_i32_e32 vcc_lo, v43, v4
	v_lshlrev_b32_e32 v16, 2, v16
	ds_bpermute_b32 v10, v18, v6
	ds_bpermute_b32 v11, v18, v7
	s_wait_dscnt 0x2
	v_pk_add_f32 v[8:9], v[14:15], v[8:9]
	ds_bpermute_b32 v14, v18, v8
	ds_bpermute_b32 v15, v18, v9
	s_wait_dscnt 0x2
	v_pk_add_f32 v[6:7], v[6:7], v[10:11]
	;; [unrolled: 4-line block ×3, first 2 shown]
	ds_bpermute_b32 v14, v16, v8
	ds_bpermute_b32 v15, v16, v9
	v_cndmask_b32_e32 v16, v5, v43, vcc_lo
	v_cmp_lt_i32_e32 vcc_lo, v42, v4
	s_wait_dscnt 0x2
	v_pk_add_f32 v[6:7], v[6:7], v[10:11]
	s_delay_alu instid0(VALU_DEP_3)
	v_dual_cndmask_b32 v4, v5, v42, vcc_lo :: v_dual_lshlrev_b32 v16, 2, v16
	s_and_b32 vcc_lo, exec_lo, s2
	ds_bpermute_b32 v10, v16, v6
	ds_bpermute_b32 v11, v16, v7
	s_wait_dscnt 0x2
	v_pk_add_f32 v[8:9], v[8:9], v[14:15]
	ds_bpermute_b32 v14, v16, v8
	ds_bpermute_b32 v15, v16, v9
	v_lshlrev_b32_e32 v16, 2, v4
	s_wait_dscnt 0x2
	v_pk_add_f32 v[4:5], v[6:7], v[10:11]
	ds_bpermute_b32 v6, v16, v4
	ds_bpermute_b32 v7, v16, v5
	s_wait_dscnt 0x2
	v_pk_add_f32 v[8:9], v[8:9], v[14:15]
	ds_bpermute_b32 v10, v16, v8
	ds_bpermute_b32 v11, v16, v9
	s_wait_dscnt 0x2
	v_pk_add_f32 v[6:7], v[4:5], v[6:7]
	s_wait_dscnt 0x0
	v_pk_add_f32 v[4:5], v[8:9], v[10:11]
	v_add_nc_u32_e32 v8, s33, v12
	s_cbranch_vccz .LBB0_21
; %bb.20:
	s_delay_alu instid0(VALU_DEP_1) | instskip(NEXT) | instid1(VALU_DEP_1)
	v_dual_ashrrev_i32 v9, 31, v8 :: v_dual_max_num_f32 v21, v3, v3
	v_lshl_add_u64 v[10:11], v[8:9], 2, s[12:13]
	v_max_num_f32_e32 v9, v0, v0
	global_load_b128 v[14:17], v[10:11], off
	s_wait_xcnt 0x0
	v_dual_max_num_f32 v10, v1, v1 :: v_dual_max_num_f32 v11, v2, v2
	s_wait_loadcnt 0x0
	v_dual_max_num_f32 v12, v14, v14 :: v_dual_max_num_f32 v19, v15, v15
	v_dual_max_num_f32 v20, v16, v16 :: v_dual_max_num_f32 v22, v17, v17
	s_delay_alu instid0(VALU_DEP_2) | instskip(NEXT) | instid1(VALU_DEP_2)
	v_dual_max_num_f32 v19, v10, v19 :: v_dual_max_num_f32 v18, v9, v12
	v_dual_max_num_f32 v20, v11, v20 :: v_dual_max_num_f32 v21, v21, v22
	s_delay_alu instid0(VALU_DEP_2) | instskip(SKIP_1) | instid1(VALU_DEP_3)
	v_dual_sub_f32 v10, v15, v19 :: v_dual_sub_f32 v0, v0, v18
	v_dual_sub_f32 v9, v14, v18 :: v_dual_sub_f32 v1, v1, v19
	;; [unrolled: 1-line block ×3, first 2 shown]
	s_delay_alu instid0(VALU_DEP_3) | instskip(NEXT) | instid1(VALU_DEP_3)
	v_dual_sub_f32 v15, v3, v21 :: v_dual_mul_f32 v2, 0x3fb8aa3b, v0
	v_mul_f32_e32 v3, 0x3fb8aa3b, v9
	v_dual_sub_f32 v16, v17, v21 :: v_dual_mul_f32 v17, 0x3fb8aa3b, v10
	s_delay_alu instid0(VALU_DEP_4) | instskip(NEXT) | instid1(VALU_DEP_4)
	v_dual_mul_f32 v14, 0x3fb8aa3b, v1 :: v_dual_mul_f32 v23, 0x3fb8aa3b, v12
	v_fma_f32 v26, 0x3fb8aa3b, v0, -v2
	v_rndne_f32_e32 v27, v2
	s_delay_alu instid0(VALU_DEP_4)
	v_dual_mul_f32 v22, 0x3fb8aa3b, v11 :: v_dual_mul_f32 v25, 0x3fb8aa3b, v16
	v_fma_f32 v28, 0x3fb8aa3b, v9, -v3
	v_rndne_f32_e32 v29, v3
	v_rndne_f32_e32 v33, v17
	;; [unrolled: 1-line block ×3, first 2 shown]
	v_fmac_f32_e32 v26, 0x32a5705f, v0
	v_sub_f32_e32 v2, v2, v27
	v_dual_mul_f32 v24, 0x3fb8aa3b, v15 :: v_dual_sub_f32 v3, v3, v29
	v_fma_f32 v30, 0x3fb8aa3b, v1, -v14
	v_fma_f32 v32, 0x3fb8aa3b, v10, -v17
	;; [unrolled: 1-line block ×3, first 2 shown]
	v_rndne_f32_e32 v43, v25
	v_fmac_f32_e32 v28, 0x32a5705f, v9
	v_sub_f32_e32 v17, v17, v33
	v_dual_sub_f32 v23, v23, v37 :: v_dual_add_f32 v2, v2, v26
	v_fma_f32 v42, 0x3fb8aa3b, v16, -v25
	v_dual_sub_f32 v25, v25, v43 :: v_dual_fmac_f32 v30, 0x32a5705f, v1
	v_add_f32_e32 v3, v3, v28
	s_delay_alu instid0(VALU_DEP_4)
	v_exp_f32_e32 v2, v2
	v_cvt_i32_f32_e32 v27, v27
	v_rndne_f32_e32 v31, v14
	v_cvt_i32_f32_e32 v29, v29
	v_exp_f32_e32 v3, v3
	v_cmp_ngt_f32_e32 vcc_lo, 0xc2ce8ed0, v0
	v_rndne_f32_e32 v41, v24
	v_ldexp_f32 v2, v2, v27
	v_sub_f32_e32 v14, v14, v31
	v_fma_f32 v34, 0x3fb8aa3b, v11, -v22
	v_fma_f32 v40, 0x3fb8aa3b, v15, -v24
	v_ldexp_f32 v3, v3, v29
	v_cndmask_b32_e32 v2, 0, v2, vcc_lo
	v_cmp_ngt_f32_e32 vcc_lo, 0xc2ce8ed0, v9
	v_fmac_f32_e32 v42, 0x32a5705f, v16
	v_dual_sub_f32 v24, v24, v41 :: v_dual_add_f32 v14, v14, v30
	v_cvt_i32_f32_e32 v31, v31
	v_dual_cndmask_b32 v3, 0, v3 :: v_dual_fmac_f32 v36, 0x32a5705f, v12
	s_delay_alu instid0(VALU_DEP_4) | instskip(SKIP_4) | instid1(VALU_DEP_3)
	v_add_f32_e32 v25, v25, v42
	v_fmac_f32_e32 v32, 0x32a5705f, v10
	v_exp_f32_e32 v14, v14
	v_cvt_i32_f32_e32 v33, v33
	v_dual_add_f32 v23, v23, v36 :: v_dual_fmac_f32 v34, 0x32a5705f, v11
	v_add_f32_e32 v17, v17, v32
	v_cmp_ngt_f32_e32 vcc_lo, 0xc2ce8ed0, v1
	v_rndne_f32_e32 v35, v22
	s_delay_alu instid0(TRANS32_DEP_1)
	v_ldexp_f32 v14, v14, v31
	v_exp_f32_e32 v25, v25
	v_exp_f32_e32 v17, v17
	v_cvt_i32_f32_e32 v43, v43
	v_exp_f32_e32 v23, v23
	v_cndmask_b32_e32 v14, 0, v14, vcc_lo
	v_cmp_ngt_f32_e32 vcc_lo, 0xc2ce8ed0, v10
	v_cvt_i32_f32_e32 v37, v37
	v_ldexp_f32 v25, v25, v43
	v_ldexp_f32 v17, v17, v33
	v_fmac_f32_e32 v40, 0x32a5705f, v15
	v_cvt_i32_f32_e32 v41, v41
	v_ldexp_f32 v23, v23, v37
	s_delay_alu instid0(VALU_DEP_4) | instskip(NEXT) | instid1(VALU_DEP_4)
	v_dual_cndmask_b32 v17, 0, v17 :: v_dual_sub_f32 v22, v22, v35
	v_add_f32_e32 v24, v24, v40
	v_cvt_i32_f32_e32 v35, v35
	v_cmp_ngt_f32_e32 vcc_lo, 0xc2ce8ed0, v11
	s_delay_alu instid0(VALU_DEP_4) | instskip(NEXT) | instid1(VALU_DEP_4)
	v_add_f32_e32 v22, v22, v34
	v_exp_f32_e32 v24, v24
	s_delay_alu instid0(VALU_DEP_1) | instskip(NEXT) | instid1(TRANS32_DEP_2)
	v_exp_f32_e32 v22, v22
	v_ldexp_f32 v24, v24, v41
	s_delay_alu instid0(TRANS32_DEP_1) | instskip(NEXT) | instid1(VALU_DEP_1)
	v_ldexp_f32 v22, v22, v35
	v_cndmask_b32_e32 v22, 0, v22, vcc_lo
	v_cmp_ngt_f32_e32 vcc_lo, 0xc2ce8ed0, v12
	v_cndmask_b32_e32 v23, 0, v23, vcc_lo
	v_cmp_ngt_f32_e32 vcc_lo, 0xc2ce8ed0, v15
	;; [unrolled: 2-line block ×3, first 2 shown]
	v_cndmask_b32_e32 v25, 0, v25, vcc_lo
	v_cmp_nlt_f32_e32 vcc_lo, 0x42b17218, v0
	v_cndmask_b32_e32 v0, 0x7f800000, v2, vcc_lo
	v_cmp_nlt_f32_e32 vcc_lo, 0x42b17218, v9
	s_delay_alu instid0(VALU_DEP_2) | instskip(SKIP_2) | instid1(VALU_DEP_3)
	v_cvt_f16_f32_e32 v9, v0
	v_cndmask_b32_e32 v2, 0x7f800000, v3, vcc_lo
	v_cmp_nlt_f32_e32 vcc_lo, 0x42b17218, v1
	v_and_b32_e32 v9, 0xffff, v9
	v_cndmask_b32_e32 v1, 0x7f800000, v14, vcc_lo
	v_cmp_nlt_f32_e32 vcc_lo, 0x42b17218, v10
	v_cndmask_b32_e32 v3, 0x7f800000, v17, vcc_lo
	v_cmp_nlt_f32_e32 vcc_lo, 0x42b17218, v11
	s_delay_alu instid0(VALU_DEP_2)
	v_pk_fma_f32 v[6:7], v[6:7], v[0:1], v[2:3]
	v_cndmask_b32_e32 v10, 0x7f800000, v22, vcc_lo
	v_cmp_nlt_f32_e32 vcc_lo, 0x42b17218, v12
	v_cvt_f16_f32_e32 v12, v1
	v_mul_u32_u24_e32 v3, 0x10001, v9
	v_cndmask_b32_e32 v14, 0x7f800000, v23, vcc_lo
	v_cmp_nlt_f32_e32 vcc_lo, 0x42b17218, v15
	s_delay_alu instid0(VALU_DEP_4) | instskip(NEXT) | instid1(VALU_DEP_4)
	v_and_b32_e32 v0, 0xffff, v12
	v_pk_mul_f16 v65, v65, v3
	v_pk_mul_f16 v66, v66, v3
	v_cndmask_b32_e32 v11, 0x7f800000, v24, vcc_lo
	v_cmp_nlt_f32_e32 vcc_lo, 0x42b17218, v16
	v_cvt_f16_f32_e32 v16, v10
	v_mul_u32_u24_e32 v0, 0x10001, v0
	s_delay_alu instid0(VALU_DEP_4) | instskip(SKIP_1) | instid1(VALU_DEP_4)
	v_cvt_f16_f32_e32 v17, v11
	v_cndmask_b32_e32 v15, 0x7f800000, v25, vcc_lo
	v_and_b32_e32 v1, 0xffff, v16
	s_delay_alu instid0(VALU_DEP_4) | instskip(SKIP_4) | instid1(VALU_DEP_3)
	v_pk_mul_f16 v63, v63, v0
	v_pk_mul_f16 v64, v64, v0
	v_and_b32_e32 v2, 0xffff, v17
	v_pk_fma_f32 v[4:5], v[4:5], v[10:11], v[14:15]
	v_mul_u32_u24_e32 v1, 0x10001, v1
	v_mul_u32_u24_e32 v2, 0x10001, v2
	s_delay_alu instid0(VALU_DEP_2) | instskip(SKIP_1) | instid1(VALU_DEP_3)
	v_pk_mul_f16 v61, v61, v1
	v_pk_mul_f16 v62, v62, v1
	;; [unrolled: 1-line block ×4, first 2 shown]
	v_mov_b64_e32 v[0:1], v[18:19]
	v_mov_b64_e32 v[2:3], v[20:21]
.LBB0_21:
	s_mov_b32 s2, exec_lo
	v_cmpx_gt_i32_e64 s22, v38
	s_cbranch_execz .LBB0_38
; %bb.22:
	s_load_b32 s0, s[0:1], 0xd4
	v_mov_b32_e32 v10, 1.0
	s_wait_kmcnt 0x0
	s_cmp_lg_u32 s0, 1
	s_cselect_b32 s1, -1, 0
	s_cmp_eq_u32 s0, 1
	s_cselect_b32 s2, -1, 0
	s_and_b32 vcc_lo, exec_lo, s1
	s_cbranch_vccnz .LBB0_24
; %bb.23:
	v_div_scale_f32 v9, null, v6, v6, 1.0
	s_delay_alu instid0(VALU_DEP_1) | instskip(SKIP_1) | instid1(TRANS32_DEP_1)
	v_rcp_f32_e32 v10, v9
	v_nop
	v_fma_f32 v11, -v9, v10, 1.0
	s_delay_alu instid0(VALU_DEP_1) | instskip(SKIP_1) | instid1(VALU_DEP_1)
	v_fmac_f32_e32 v10, v11, v10
	v_div_scale_f32 v11, vcc_lo, 1.0, v6, 1.0
	v_mul_f32_e32 v12, v11, v10
	s_delay_alu instid0(VALU_DEP_1) | instskip(NEXT) | instid1(VALU_DEP_1)
	v_fma_f32 v14, -v9, v12, v11
	v_fmac_f32_e32 v12, v14, v10
	s_delay_alu instid0(VALU_DEP_1) | instskip(NEXT) | instid1(VALU_DEP_1)
	v_fma_f32 v9, -v9, v12, v11
	v_div_fmas_f32 v9, v9, v10, v12
	s_delay_alu instid0(VALU_DEP_1)
	v_div_fixup_f32 v10, v9, v6, 1.0
.LBB0_24:
	v_mad_u32 v9, s28, s22, v38
	v_lshrrev_b32_e32 v11, 16, v66
	v_cvt_f32_f16_e32 v16, v65
	v_cvt_f32_f16_e32 v18, v66
	v_cmp_eq_u32_e32 vcc_lo, 0, v13
	v_mov_b32_e32 v15, 0
	v_cvt_f32_f16_e32 v19, v11
	s_and_b32 s1, vcc_lo, s1
	v_mad_u32 v8, v9, s23, v8
	s_delay_alu instid0(VALU_DEP_1) | instskip(SKIP_1) | instid1(VALU_DEP_1)
	v_mad_u32 v9, s0, v8, s31
	v_lshrrev_b32_e32 v8, 16, v65
	v_cvt_f32_f16_e32 v17, v8
	s_delay_alu instid0(VALU_DEP_1) | instskip(NEXT) | instid1(VALU_DEP_4)
	v_pk_mul_f32 v[12:13], v[10:11], v[16:17] op_sel_hi:[0,1]
	v_lshl_add_u32 v14, v9, 7, v39
	s_delay_alu instid0(VALU_DEP_1)
	v_lshl_add_u64 v[16:17], v[14:15], 2, s[16:17]
	v_pk_mul_f32 v[14:15], v[10:11], v[18:19] op_sel_hi:[0,1]
	global_store_b128 v[16:17], v[12:15], off
	s_wait_xcnt 0x0
	s_and_saveexec_b32 s3, s1
	s_cbranch_execz .LBB0_26
; %bb.25:
	v_dual_mov_b32 v10, v0 :: v_dual_mov_b32 v11, v6
	global_store_b64 v9, v[10:11], s[18:19] scale_offset
.LBB0_26:
	s_wait_xcnt 0x0
	s_or_b32 exec_lo, exec_lo, s3
	v_cndmask_b32_e64 v8, 0, 1, s2
	v_mov_b32_e32 v0, 1.0
	s_and_not1_b32 vcc_lo, exec_lo, s2
	s_cbranch_vccnz .LBB0_28
; %bb.27:
	v_div_scale_f32 v0, null, v7, v7, 1.0
	s_delay_alu instid0(VALU_DEP_1) | instskip(SKIP_1) | instid1(TRANS32_DEP_1)
	v_rcp_f32_e32 v6, v0
	v_nop
	v_fma_f32 v10, -v0, v6, 1.0
	s_delay_alu instid0(VALU_DEP_1) | instskip(SKIP_1) | instid1(VALU_DEP_1)
	v_fmac_f32_e32 v6, v10, v6
	v_div_scale_f32 v10, vcc_lo, 1.0, v7, 1.0
	v_mul_f32_e32 v11, v10, v6
	s_delay_alu instid0(VALU_DEP_1) | instskip(NEXT) | instid1(VALU_DEP_1)
	v_fma_f32 v12, -v0, v11, v10
	v_fmac_f32_e32 v11, v12, v6
	s_delay_alu instid0(VALU_DEP_1) | instskip(NEXT) | instid1(VALU_DEP_1)
	v_fma_f32 v0, -v0, v11, v10
	v_div_fmas_f32 v0, v0, v6, v11
	s_delay_alu instid0(VALU_DEP_1)
	v_div_fixup_f32 v0, v0, v7, 1.0
.LBB0_28:
	v_dual_add_nc_u32 v9, s0, v9 :: v_dual_lshrrev_b32 v6, 16, v63
	v_dual_mov_b32 v11, 0 :: v_dual_lshrrev_b32 v15, 16, v64
	v_cvt_f32_f16_e32 v12, v63
	s_delay_alu instid0(VALU_DEP_3) | instskip(NEXT) | instid1(VALU_DEP_4)
	v_lshl_add_u32 v10, v9, 7, v39
	v_cvt_f32_f16_e32 v13, v6
	v_cvt_f32_f16_e32 v14, v64
	v_cvt_f32_f16_e32 v15, v15
	s_delay_alu instid0(VALU_DEP_4) | instskip(NEXT) | instid1(VALU_DEP_4)
	v_lshl_add_u64 v[16:17], v[10:11], 2, s[16:17]
	v_pk_mul_f32 v[10:11], v[0:1], v[12:13] op_sel_hi:[0,1]
	s_delay_alu instid0(VALU_DEP_3)
	v_pk_mul_f32 v[12:13], v[0:1], v[14:15] op_sel_hi:[0,1]
	global_store_b128 v[16:17], v[10:13], off
	s_wait_xcnt 0x0
	s_and_saveexec_b32 s2, s1
	s_cbranch_execz .LBB0_30
; %bb.29:
	v_mov_b32_e32 v6, v1
	global_store_b64 v9, v[6:7], s[18:19] scale_offset
.LBB0_30:
	s_wait_xcnt 0x0
	s_or_b32 exec_lo, exec_lo, s2
	v_cmp_ne_u32_e32 vcc_lo, 1, v8
	v_mov_b32_e32 v0, 1.0
	s_cbranch_vccnz .LBB0_32
; %bb.31:
	v_div_scale_f32 v0, null, v4, v4, 1.0
	s_delay_alu instid0(VALU_DEP_1) | instskip(SKIP_1) | instid1(TRANS32_DEP_1)
	v_rcp_f32_e32 v1, v0
	v_nop
	v_fma_f32 v6, -v0, v1, 1.0
	s_delay_alu instid0(VALU_DEP_1) | instskip(SKIP_1) | instid1(VALU_DEP_1)
	v_fmac_f32_e32 v1, v6, v1
	v_div_scale_f32 v6, vcc_lo, 1.0, v4, 1.0
	v_mul_f32_e32 v7, v6, v1
	s_delay_alu instid0(VALU_DEP_1) | instskip(NEXT) | instid1(VALU_DEP_1)
	v_fma_f32 v10, -v0, v7, v6
	v_fmac_f32_e32 v7, v10, v1
	s_delay_alu instid0(VALU_DEP_1) | instskip(NEXT) | instid1(VALU_DEP_1)
	v_fma_f32 v0, -v0, v7, v6
	v_div_fmas_f32 v0, v0, v1, v7
	s_delay_alu instid0(VALU_DEP_1)
	v_div_fixup_f32 v0, v0, v4, 1.0
.LBB0_32:
	v_dual_add_nc_u32 v1, s0, v9 :: v_dual_mov_b32 v7, 0
	v_dual_lshrrev_b32 v9, 16, v61 :: v_dual_lshrrev_b32 v13, 16, v62
	v_cvt_f32_f16_e32 v10, v61
	s_delay_alu instid0(VALU_DEP_3) | instskip(SKIP_1) | instid1(VALU_DEP_4)
	v_lshl_add_u32 v6, v1, 7, v39
	v_cvt_f32_f16_e32 v12, v62
	v_cvt_f32_f16_e32 v11, v9
	;; [unrolled: 1-line block ×3, first 2 shown]
	s_delay_alu instid0(VALU_DEP_4) | instskip(NEXT) | instid1(VALU_DEP_3)
	v_lshl_add_u64 v[6:7], v[6:7], 2, s[16:17]
	v_pk_mul_f32 v[10:11], v[0:1], v[10:11] op_sel_hi:[0,1]
	s_delay_alu instid0(VALU_DEP_3)
	v_pk_mul_f32 v[12:13], v[0:1], v[12:13] op_sel_hi:[0,1]
	global_store_b128 v[6:7], v[10:13], off
	s_wait_xcnt 0x0
	s_and_saveexec_b32 s2, s1
	s_cbranch_execz .LBB0_34
; %bb.33:
	v_dual_mov_b32 v6, v2 :: v_dual_mov_b32 v7, v4
	global_store_b64 v1, v[6:7], s[18:19] scale_offset
.LBB0_34:
	s_wait_xcnt 0x0
	s_or_b32 exec_lo, exec_lo, s2
	v_cmp_ne_u32_e32 vcc_lo, 1, v8
	v_mov_b32_e32 v0, 1.0
	s_cbranch_vccnz .LBB0_36
; %bb.35:
	v_div_scale_f32 v0, null, v5, v5, 1.0
	s_delay_alu instid0(VALU_DEP_1) | instskip(SKIP_1) | instid1(TRANS32_DEP_1)
	v_rcp_f32_e32 v2, v0
	v_nop
	v_fma_f32 v4, -v0, v2, 1.0
	s_delay_alu instid0(VALU_DEP_1) | instskip(SKIP_1) | instid1(VALU_DEP_1)
	v_fmac_f32_e32 v2, v4, v2
	v_div_scale_f32 v4, vcc_lo, 1.0, v5, 1.0
	v_mul_f32_e32 v6, v4, v2
	s_delay_alu instid0(VALU_DEP_1) | instskip(NEXT) | instid1(VALU_DEP_1)
	v_fma_f32 v7, -v0, v6, v4
	v_fmac_f32_e32 v6, v7, v2
	s_delay_alu instid0(VALU_DEP_1) | instskip(NEXT) | instid1(VALU_DEP_1)
	v_fma_f32 v0, -v0, v6, v4
	v_div_fmas_f32 v0, v0, v2, v6
	s_delay_alu instid0(VALU_DEP_1)
	v_div_fixup_f32 v0, v0, v5, 1.0
.LBB0_36:
	v_dual_add_nc_u32 v1, s0, v1 :: v_dual_lshrrev_b32 v2, 16, v59
	v_dual_mov_b32 v7, 0 :: v_dual_lshrrev_b32 v4, 16, v60
	v_cvt_f32_f16_e32 v8, v59
	s_delay_alu instid0(VALU_DEP_3) | instskip(NEXT) | instid1(VALU_DEP_4)
	v_lshl_add_u32 v6, v1, 7, v39
	v_cvt_f32_f16_e32 v9, v2
	v_cvt_f32_f16_e32 v10, v60
	;; [unrolled: 1-line block ×3, first 2 shown]
	s_delay_alu instid0(VALU_DEP_4) | instskip(NEXT) | instid1(VALU_DEP_4)
	v_lshl_add_u64 v[12:13], v[6:7], 2, s[16:17]
	v_pk_mul_f32 v[6:7], v[0:1], v[8:9] op_sel_hi:[0,1]
	s_delay_alu instid0(VALU_DEP_3)
	v_pk_mul_f32 v[8:9], v[0:1], v[10:11] op_sel_hi:[0,1]
	global_store_b128 v[12:13], v[6:9], off
	s_wait_xcnt 0x0
	s_and_b32 exec_lo, exec_lo, s1
	s_cbranch_execz .LBB0_38
; %bb.37:
	v_mov_b32_e32 v4, v3
	global_store_b64 v1, v[4:5], s[18:19] scale_offset
.LBB0_38:
	s_sendmsg sendmsg(MSG_DEALLOC_VGPRS)
	s_endpgm
	.section	.rodata,"a",@progbits
	.p2align	6, 0x0
	.amdhsa_kernel _ZL15flash_attn_tileILi192ELi128ELi2ELi16ELb0EEvPKcS1_S1_S1_S1_PKiPfP15HIP_vector_typeIfLj2EEffffjfiS5_IjLj3EEiiiiiiiiiiiliiliiiiil
		.amdhsa_group_segment_fixed_size 25600
		.amdhsa_private_segment_fixed_size 0
		.amdhsa_kernarg_size 464
		.amdhsa_user_sgpr_count 2
		.amdhsa_user_sgpr_dispatch_ptr 0
		.amdhsa_user_sgpr_queue_ptr 0
		.amdhsa_user_sgpr_kernarg_segment_ptr 1
		.amdhsa_user_sgpr_dispatch_id 0
		.amdhsa_user_sgpr_kernarg_preload_length 0
		.amdhsa_user_sgpr_kernarg_preload_offset 0
		.amdhsa_user_sgpr_private_segment_size 0
		.amdhsa_wavefront_size32 1
		.amdhsa_uses_dynamic_stack 0
		.amdhsa_enable_private_segment 0
		.amdhsa_system_sgpr_workgroup_id_x 1
		.amdhsa_system_sgpr_workgroup_id_y 1
		.amdhsa_system_sgpr_workgroup_id_z 1
		.amdhsa_system_sgpr_workgroup_info 0
		.amdhsa_system_vgpr_workitem_id 1
		.amdhsa_next_free_vgpr 119
		.amdhsa_next_free_sgpr 43
		.amdhsa_named_barrier_count 0
		.amdhsa_reserve_vcc 1
		.amdhsa_float_round_mode_32 0
		.amdhsa_float_round_mode_16_64 0
		.amdhsa_float_denorm_mode_32 3
		.amdhsa_float_denorm_mode_16_64 3
		.amdhsa_fp16_overflow 0
		.amdhsa_memory_ordered 1
		.amdhsa_forward_progress 1
		.amdhsa_inst_pref_size 145
		.amdhsa_round_robin_scheduling 0
		.amdhsa_exception_fp_ieee_invalid_op 0
		.amdhsa_exception_fp_denorm_src 0
		.amdhsa_exception_fp_ieee_div_zero 0
		.amdhsa_exception_fp_ieee_overflow 0
		.amdhsa_exception_fp_ieee_underflow 0
		.amdhsa_exception_fp_ieee_inexact 0
		.amdhsa_exception_int_div_zero 0
	.end_amdhsa_kernel
	.section	.text._ZL15flash_attn_tileILi192ELi128ELi2ELi16ELb0EEvPKcS1_S1_S1_S1_PKiPfP15HIP_vector_typeIfLj2EEffffjfiS5_IjLj3EEiiiiiiiiiiiliiliiiiil,"axG",@progbits,_ZL15flash_attn_tileILi192ELi128ELi2ELi16ELb0EEvPKcS1_S1_S1_S1_PKiPfP15HIP_vector_typeIfLj2EEffffjfiS5_IjLj3EEiiiiiiiiiiiliiliiiiil,comdat
.Lfunc_end0:
	.size	_ZL15flash_attn_tileILi192ELi128ELi2ELi16ELb0EEvPKcS1_S1_S1_S1_PKiPfP15HIP_vector_typeIfLj2EEffffjfiS5_IjLj3EEiiiiiiiiiiiliiliiiiil, .Lfunc_end0-_ZL15flash_attn_tileILi192ELi128ELi2ELi16ELb0EEvPKcS1_S1_S1_S1_PKiPfP15HIP_vector_typeIfLj2EEffffjfiS5_IjLj3EEiiiiiiiiiiiliiliiiiil
                                        ; -- End function
	.set _ZL15flash_attn_tileILi192ELi128ELi2ELi16ELb0EEvPKcS1_S1_S1_S1_PKiPfP15HIP_vector_typeIfLj2EEffffjfiS5_IjLj3EEiiiiiiiiiiiliiliiiiil.num_vgpr, 119
	.set _ZL15flash_attn_tileILi192ELi128ELi2ELi16ELb0EEvPKcS1_S1_S1_S1_PKiPfP15HIP_vector_typeIfLj2EEffffjfiS5_IjLj3EEiiiiiiiiiiiliiliiiiil.num_agpr, 0
	.set _ZL15flash_attn_tileILi192ELi128ELi2ELi16ELb0EEvPKcS1_S1_S1_S1_PKiPfP15HIP_vector_typeIfLj2EEffffjfiS5_IjLj3EEiiiiiiiiiiiliiliiiiil.numbered_sgpr, 43
	.set _ZL15flash_attn_tileILi192ELi128ELi2ELi16ELb0EEvPKcS1_S1_S1_S1_PKiPfP15HIP_vector_typeIfLj2EEffffjfiS5_IjLj3EEiiiiiiiiiiiliiliiiiil.num_named_barrier, 0
	.set _ZL15flash_attn_tileILi192ELi128ELi2ELi16ELb0EEvPKcS1_S1_S1_S1_PKiPfP15HIP_vector_typeIfLj2EEffffjfiS5_IjLj3EEiiiiiiiiiiiliiliiiiil.private_seg_size, 0
	.set _ZL15flash_attn_tileILi192ELi128ELi2ELi16ELb0EEvPKcS1_S1_S1_S1_PKiPfP15HIP_vector_typeIfLj2EEffffjfiS5_IjLj3EEiiiiiiiiiiiliiliiiiil.uses_vcc, 1
	.set _ZL15flash_attn_tileILi192ELi128ELi2ELi16ELb0EEvPKcS1_S1_S1_S1_PKiPfP15HIP_vector_typeIfLj2EEffffjfiS5_IjLj3EEiiiiiiiiiiiliiliiiiil.uses_flat_scratch, 0
	.set _ZL15flash_attn_tileILi192ELi128ELi2ELi16ELb0EEvPKcS1_S1_S1_S1_PKiPfP15HIP_vector_typeIfLj2EEffffjfiS5_IjLj3EEiiiiiiiiiiiliiliiiiil.has_dyn_sized_stack, 0
	.set _ZL15flash_attn_tileILi192ELi128ELi2ELi16ELb0EEvPKcS1_S1_S1_S1_PKiPfP15HIP_vector_typeIfLj2EEffffjfiS5_IjLj3EEiiiiiiiiiiiliiliiiiil.has_recursion, 0
	.set _ZL15flash_attn_tileILi192ELi128ELi2ELi16ELb0EEvPKcS1_S1_S1_S1_PKiPfP15HIP_vector_typeIfLj2EEffffjfiS5_IjLj3EEiiiiiiiiiiiliiliiiiil.has_indirect_call, 0
	.section	.AMDGPU.csdata,"",@progbits
; Kernel info:
; codeLenInByte = 18520
; TotalNumSgprs: 45
; NumVgprs: 119
; ScratchSize: 0
; MemoryBound: 0
; FloatMode: 240
; IeeeMode: 1
; LDSByteSize: 25600 bytes/workgroup (compile time only)
; SGPRBlocks: 0
; VGPRBlocks: 7
; NumSGPRsForWavesPerEU: 45
; NumVGPRsForWavesPerEU: 119
; NamedBarCnt: 0
; Occupancy: 8
; WaveLimiterHint : 1
; COMPUTE_PGM_RSRC2:SCRATCH_EN: 0
; COMPUTE_PGM_RSRC2:USER_SGPR: 2
; COMPUTE_PGM_RSRC2:TRAP_HANDLER: 0
; COMPUTE_PGM_RSRC2:TGID_X_EN: 1
; COMPUTE_PGM_RSRC2:TGID_Y_EN: 1
; COMPUTE_PGM_RSRC2:TGID_Z_EN: 1
; COMPUTE_PGM_RSRC2:TIDIG_COMP_CNT: 1
	.section	.text._ZL25flash_attn_mask_to_KV_maxILi2EEvPK7__half2Piiii,"axG",@progbits,_ZL25flash_attn_mask_to_KV_maxILi2EEvPK7__half2Piiii,comdat
	.globl	_ZL25flash_attn_mask_to_KV_maxILi2EEvPK7__half2Piiii ; -- Begin function _ZL25flash_attn_mask_to_KV_maxILi2EEvPK7__half2Piiii
	.p2align	8
	.type	_ZL25flash_attn_mask_to_KV_maxILi2EEvPK7__half2Piiii,@function
_ZL25flash_attn_mask_to_KV_maxILi2EEvPK7__half2Piiii: ; @_ZL25flash_attn_mask_to_KV_maxILi2EEvPK7__half2Piiii
; %bb.0:
	s_load_b128 s[4:7], s[0:1], 0x0
	s_mov_b32 s2, exec_lo
	v_cmpx_gt_u32_e32 32, v0
; %bb.1:
	v_dual_mov_b32 v2, 1 :: v_dual_lshlrev_b32 v1, 2, v0
	ds_store_b32 v1, v2
; %bb.2:
	s_or_b32 exec_lo, exec_lo, s2
	s_clause 0x1
	s_load_b96 s[8:10], s[0:1], 0x10
	s_load_b32 s11, s[0:1], 0x20
	s_wait_xcnt 0x0
	s_bfe_u32 s1, ttmp6, 0x4000c
	s_bfe_u32 s2, ttmp6, 0x40010
	s_add_co_i32 s1, s1, 1
	s_add_co_i32 s2, s2, 1
	s_and_b32 s0, ttmp6, 15
	s_bfe_u32 s3, ttmp6, 0x40004
	s_mul_i32 s1, ttmp9, s1
	s_mul_i32 s2, ttmp7, s2
	s_getreg_b32 s12, hwreg(HW_REG_IB_STS2, 6, 4)
	s_add_co_i32 s0, s0, s1
	s_add_co_i32 s3, s3, s2
	s_cmp_eq_u32 s12, 0
	v_dual_lshrrev_b32 v1, 3, v0 :: v_dual_bitop2_b32 v2, 31, v0 bitop3:0x40
	s_cselect_b32 s1, ttmp9, s0
	s_cselect_b32 s12, ttmp7, s3
	s_wait_dscnt 0x0
	s_barrier_signal -1
	s_wait_kmcnt 0x0
	s_mul_i32 s0, s1, s9
	s_mul_i32 s2, s10, s12
	s_lshl_b32 s0, s0, 1
	s_barrier_wait -1
	s_add_co_i32 s2, s2, s0
	v_cmp_eq_u32_e64 s0, 0, v2
	s_ashr_i32 s3, s2, 31
	v_lshlrev_b32_e32 v2, 2, v2
	s_lshl_b64 s[2:3], s[2:3], 2
	s_delay_alu instid0(SALU_CYCLE_1)
	s_add_nc_u64 s[2:3], s[4:5], s[2:3]
	s_lshl_b32 s5, s8, 8
	s_branch .LBB1_4
.LBB1_3:                                ;   in Loop: Header=BB1_4 Depth=1
	s_or_b32 exec_lo, exec_lo, s8
	s_wait_dscnt 0x0
	s_barrier_signal -1
	s_barrier_wait -1
	ds_load_b32 v3, v2
	s_wait_dscnt 0x0
	s_barrier_signal -1
	s_barrier_wait -1
	v_cmp_ne_u32_e32 vcc_lo, 0, v3
	s_cmp_lg_u32 vcc_lo, exec_lo
	s_cselect_b32 s8, -1, 0
	s_delay_alu instid0(SALU_CYCLE_1)
	s_and_b32 vcc_lo, exec_lo, s8
	s_cbranch_vccnz .LBB1_12
.LBB1_4:                                ; =>This Inner Loop Header: Depth=1
	s_mov_b32 s4, s5
	s_addk_co_i32 s5, 0xff00
	s_delay_alu instid0(SALU_CYCLE_1)
	s_cmp_lt_i32 s5, 0
	s_cbranch_scc1 .LBB1_11
; %bb.5:                                ;   in Loop: Header=BB1_4 Depth=1
	s_lshr_b32 s8, s5, 1
	s_delay_alu instid0(SALU_CYCLE_1) | instskip(SKIP_4) | instid1(VALU_DEP_2)
	v_add_nc_u32_e32 v3, s8, v0
	global_load_b32 v4, v3, s[2:3] scale_offset
	s_wait_loadcnt 0x0
	v_lshrrev_b32_e32 v5, 16, v4
	v_cmp_class_f16_e64 s8, v4, 0x204
	v_cmp_class_f16_e64 s10, v5, 0x204
	s_and_b32 s13, s8, s10
	s_mov_b32 s10, 0
	s_and_saveexec_b32 s8, s13
	s_cbranch_execz .LBB1_9
; %bb.6:                                ;   in Loop: Header=BB1_4 Depth=1
	v_add_nc_u32_e32 v3, s9, v3
	global_load_b32 v3, v3, s[2:3] scale_offset
	s_wait_loadcnt 0x0
	v_cmp_class_f16_e64 s14, v3, 0x204
	s_and_saveexec_b32 s13, s14
; %bb.7:                                ;   in Loop: Header=BB1_4 Depth=1
	v_lshrrev_b32_e32 v3, 16, v3
	s_delay_alu instid0(VALU_DEP_1)
	v_cmp_class_f16_e64 s10, v3, 0x204
	s_and_b32 s10, s10, exec_lo
; %bb.8:                                ;   in Loop: Header=BB1_4 Depth=1
	s_or_b32 exec_lo, exec_lo, s13
	s_delay_alu instid0(SALU_CYCLE_1)
	s_and_b32 s10, s10, exec_lo
.LBB1_9:                                ;   in Loop: Header=BB1_4 Depth=1
	s_or_b32 exec_lo, exec_lo, s8
	v_cndmask_b32_e64 v3, 0, 1, s10
	s_mov_b32 s13, exec_lo
	s_delay_alu instid0(VALU_DEP_1)
	v_cmp_ne_u32_e32 vcc_lo, 0, v3
	s_and_saveexec_b32 s8, s0
	s_cbranch_execz .LBB1_3
; %bb.10:                               ;   in Loop: Header=BB1_4 Depth=1
	s_cmp_eq_u32 vcc_lo, s13
	s_cselect_b32 s10, -1, 0
	s_delay_alu instid0(SALU_CYCLE_1)
	v_cndmask_b32_e64 v3, 0, 1, s10
	ds_store_b32 v1, v3
	s_branch .LBB1_3
.LBB1_11:                               ;   in Loop: Header=BB1_4 Depth=1
	s_cbranch_execz .LBB1_4
.LBB1_12:
	s_mov_b32 s0, exec_lo
	v_cmpx_eq_u32_e32 0, v0
	s_cbranch_execz .LBB1_14
; %bb.13:
	s_mul_i32 s0, s11, s12
	v_mov_b32_e32 v1, s4
	s_add_co_i32 s0, s0, s1
	s_delay_alu instid0(SALU_CYCLE_1)
	v_mov_b32_e32 v0, s0
	global_store_b32 v0, v1, s[6:7] scale_offset
.LBB1_14:
	s_endpgm
	.section	.rodata,"a",@progbits
	.p2align	6, 0x0
	.amdhsa_kernel _ZL25flash_attn_mask_to_KV_maxILi2EEvPK7__half2Piiii
		.amdhsa_group_segment_fixed_size 128
		.amdhsa_private_segment_fixed_size 0
		.amdhsa_kernarg_size 288
		.amdhsa_user_sgpr_count 2
		.amdhsa_user_sgpr_dispatch_ptr 0
		.amdhsa_user_sgpr_queue_ptr 0
		.amdhsa_user_sgpr_kernarg_segment_ptr 1
		.amdhsa_user_sgpr_dispatch_id 0
		.amdhsa_user_sgpr_kernarg_preload_length 0
		.amdhsa_user_sgpr_kernarg_preload_offset 0
		.amdhsa_user_sgpr_private_segment_size 0
		.amdhsa_wavefront_size32 1
		.amdhsa_uses_dynamic_stack 0
		.amdhsa_enable_private_segment 0
		.amdhsa_system_sgpr_workgroup_id_x 1
		.amdhsa_system_sgpr_workgroup_id_y 1
		.amdhsa_system_sgpr_workgroup_id_z 0
		.amdhsa_system_sgpr_workgroup_info 0
		.amdhsa_system_vgpr_workitem_id 0
		.amdhsa_next_free_vgpr 6
		.amdhsa_next_free_sgpr 15
		.amdhsa_named_barrier_count 0
		.amdhsa_reserve_vcc 1
		.amdhsa_float_round_mode_32 0
		.amdhsa_float_round_mode_16_64 0
		.amdhsa_float_denorm_mode_32 3
		.amdhsa_float_denorm_mode_16_64 3
		.amdhsa_fp16_overflow 0
		.amdhsa_memory_ordered 1
		.amdhsa_forward_progress 1
		.amdhsa_inst_pref_size 5
		.amdhsa_round_robin_scheduling 0
		.amdhsa_exception_fp_ieee_invalid_op 0
		.amdhsa_exception_fp_denorm_src 0
		.amdhsa_exception_fp_ieee_div_zero 0
		.amdhsa_exception_fp_ieee_overflow 0
		.amdhsa_exception_fp_ieee_underflow 0
		.amdhsa_exception_fp_ieee_inexact 0
		.amdhsa_exception_int_div_zero 0
	.end_amdhsa_kernel
	.section	.text._ZL25flash_attn_mask_to_KV_maxILi2EEvPK7__half2Piiii,"axG",@progbits,_ZL25flash_attn_mask_to_KV_maxILi2EEvPK7__half2Piiii,comdat
.Lfunc_end1:
	.size	_ZL25flash_attn_mask_to_KV_maxILi2EEvPK7__half2Piiii, .Lfunc_end1-_ZL25flash_attn_mask_to_KV_maxILi2EEvPK7__half2Piiii
                                        ; -- End function
	.set _ZL25flash_attn_mask_to_KV_maxILi2EEvPK7__half2Piiii.num_vgpr, 6
	.set _ZL25flash_attn_mask_to_KV_maxILi2EEvPK7__half2Piiii.num_agpr, 0
	.set _ZL25flash_attn_mask_to_KV_maxILi2EEvPK7__half2Piiii.numbered_sgpr, 15
	.set _ZL25flash_attn_mask_to_KV_maxILi2EEvPK7__half2Piiii.num_named_barrier, 0
	.set _ZL25flash_attn_mask_to_KV_maxILi2EEvPK7__half2Piiii.private_seg_size, 0
	.set _ZL25flash_attn_mask_to_KV_maxILi2EEvPK7__half2Piiii.uses_vcc, 1
	.set _ZL25flash_attn_mask_to_KV_maxILi2EEvPK7__half2Piiii.uses_flat_scratch, 0
	.set _ZL25flash_attn_mask_to_KV_maxILi2EEvPK7__half2Piiii.has_dyn_sized_stack, 0
	.set _ZL25flash_attn_mask_to_KV_maxILi2EEvPK7__half2Piiii.has_recursion, 0
	.set _ZL25flash_attn_mask_to_KV_maxILi2EEvPK7__half2Piiii.has_indirect_call, 0
	.section	.AMDGPU.csdata,"",@progbits
; Kernel info:
; codeLenInByte = 548
; TotalNumSgprs: 17
; NumVgprs: 6
; ScratchSize: 0
; MemoryBound: 0
; FloatMode: 240
; IeeeMode: 1
; LDSByteSize: 128 bytes/workgroup (compile time only)
; SGPRBlocks: 0
; VGPRBlocks: 0
; NumSGPRsForWavesPerEU: 17
; NumVGPRsForWavesPerEU: 6
; NamedBarCnt: 0
; Occupancy: 16
; WaveLimiterHint : 0
; COMPUTE_PGM_RSRC2:SCRATCH_EN: 0
; COMPUTE_PGM_RSRC2:USER_SGPR: 2
; COMPUTE_PGM_RSRC2:TRAP_HANDLER: 0
; COMPUTE_PGM_RSRC2:TGID_X_EN: 1
; COMPUTE_PGM_RSRC2:TGID_Y_EN: 1
; COMPUTE_PGM_RSRC2:TGID_Z_EN: 0
; COMPUTE_PGM_RSRC2:TIDIG_COMP_CNT: 0
	.section	.text._ZL33flash_attn_stream_k_fixup_uniformILi128ELi2ELi16EEvPfPK15HIP_vector_typeIfLj2EEiiiiiiS1_IjLj3EES5_S5_,"axG",@progbits,_ZL33flash_attn_stream_k_fixup_uniformILi128ELi2ELi16EEvPfPK15HIP_vector_typeIfLj2EEiiiiiiS1_IjLj3EES5_S5_,comdat
	.globl	_ZL33flash_attn_stream_k_fixup_uniformILi128ELi2ELi16EEvPfPK15HIP_vector_typeIfLj2EEiiiiiiS1_IjLj3EES5_S5_ ; -- Begin function _ZL33flash_attn_stream_k_fixup_uniformILi128ELi2ELi16EEvPfPK15HIP_vector_typeIfLj2EEiiiiiiS1_IjLj3EES5_S5_
	.p2align	8
	.type	_ZL33flash_attn_stream_k_fixup_uniformILi128ELi2ELi16EEvPfPK15HIP_vector_typeIfLj2EEiiiiiiS1_IjLj3EES5_S5_,@function
_ZL33flash_attn_stream_k_fixup_uniformILi128ELi2ELi16EEvPfPK15HIP_vector_typeIfLj2EEiiiiiiS1_IjLj3EES5_S5_: ; @_ZL33flash_attn_stream_k_fixup_uniformILi128ELi2ELi16EEvPfPK15HIP_vector_typeIfLj2EEiiiiiiS1_IjLj3EES5_S5_
; %bb.0:
	s_load_b256 s[4:11], s[0:1], 0x1c
	s_bfe_u32 s2, ttmp6, 0x40014
	s_lshr_b32 s3, ttmp7, 16
	s_add_co_i32 s2, s2, 1
	s_bfe_u32 s13, ttmp6, 0x40010
	s_mul_i32 s2, s3, s2
	s_bfe_u32 s12, ttmp6, 0x40008
	s_and_b32 s15, ttmp7, 0xffff
	s_add_co_i32 s13, s13, 1
	s_bfe_u32 s14, ttmp6, 0x4000c
	s_add_co_i32 s12, s12, s2
	s_mul_i32 s2, s15, s13
	s_bfe_u32 s13, ttmp6, 0x40004
	s_add_co_i32 s14, s14, 1
	s_add_co_i32 s13, s13, s2
	s_and_b32 s2, ttmp6, 15
	s_mul_i32 s14, ttmp9, s14
	s_getreg_b32 s20, hwreg(HW_REG_IB_STS2, 6, 4)
	s_add_co_i32 s2, s2, s14
	s_load_b128 s[16:19], s[0:1], 0x3c
	s_cmp_eq_u32 s20, 0
	s_cselect_b32 s14, ttmp9, s2
	s_cselect_b32 s13, s15, s13
	s_wait_kmcnt 0x0
	s_mul_hi_u32 s2, s7, s14
	s_cselect_b32 s12, s3, s12
	s_add_co_i32 s2, s14, s2
	s_delay_alu instid0(SALU_CYCLE_1) | instskip(NEXT) | instid1(SALU_CYCLE_1)
	s_lshr_b32 s7, s2, s8
	s_mul_i32 s2, s7, s9
	s_delay_alu instid0(SALU_CYCLE_1) | instskip(NEXT) | instid1(SALU_CYCLE_1)
	s_sub_co_i32 s8, s14, s2
	s_mul_hi_u32 s2, s8, s10
	s_delay_alu instid0(SALU_CYCLE_1) | instskip(SKIP_2) | instid1(SALU_CYCLE_1)
	s_add_co_i32 s9, s8, s2
	s_load_b64 s[2:3], s[0:1], 0x10
	s_lshr_b32 s15, s9, s11
	s_mul_i32 s9, s15, s16
	s_delay_alu instid0(SALU_CYCLE_1) | instskip(NEXT) | instid1(SALU_CYCLE_1)
	s_sub_co_i32 s8, s8, s9
	s_mul_hi_u32 s9, s8, s17
	s_delay_alu instid0(SALU_CYCLE_1) | instskip(NEXT) | instid1(SALU_CYCLE_1)
	s_add_co_i32 s9, s8, s9
	s_lshr_b32 s9, s9, s18
	s_delay_alu instid0(SALU_CYCLE_1) | instskip(SKIP_2) | instid1(SALU_CYCLE_1)
	s_mul_i32 s10, s9, s19
	s_lshl_b32 s17, s9, 4
	s_sub_co_i32 s16, s8, s10
	s_lshl_b32 s8, s16, 1
	s_delay_alu instid0(SALU_CYCLE_1) | instskip(SKIP_4) | instid1(SALU_CYCLE_1)
	s_add_co_i32 s8, s8, s13
	s_wait_kmcnt 0x0
	s_cmp_lt_i32 s8, s2
	s_cselect_b32 s8, -1, 0
	s_add_co_i32 s9, s17, s12
	s_cmp_lt_i32 s9, s5
	s_cselect_b32 s9, -1, 0
	s_delay_alu instid0(SALU_CYCLE_1) | instskip(NEXT) | instid1(SALU_CYCLE_1)
	s_and_b32 s8, s8, s9
	s_and_not1_b32 vcc_lo, exec_lo, s8
	s_cbranch_vccnz .LBB2_6
; %bb.1:
	s_mul_i32 s2, s7, s2
	s_load_b128 s[8:11], s[0:1], 0x0
	s_wait_xcnt 0x0
	s_add_co_i32 s0, s2, s13
	s_mul_i32 s15, s15, s5
	s_mul_i32 s0, s0, s3
	;; [unrolled: 1-line block ×3, first 2 shown]
	s_add_co_i32 s0, s0, s12
	s_lshl_b32 s1, s1, 8
	s_add_co_i32 s0, s0, s15
	s_mul_i32 s7, s6, s14
	s_add_co_i32 s0, s0, s17
	s_lshl_b32 s5, s13, 4
	s_lshl_b32 s0, s0, 7
	s_add_co_i32 s15, s7, s6
	s_add_co_i32 s1, s1, s0
	;; [unrolled: 1-line block ×3, first 2 shown]
	v_or_b32_e32 v4, s1, v0
	s_lshl_b32 s1, s15, 5
	s_add_co_i32 s2, s15, -2
	s_add_co_i32 s0, s0, s1
	s_delay_alu instid0(SALU_CYCLE_1)
	s_sub_co_i32 s0, s0, 32
	s_wait_kmcnt 0x0
	global_load_b32 v3, v4, s[8:9] scale_offset
	s_ashr_i32 s1, s0, 31
	v_ashrrev_i32_e32 v5, 31, v4
	s_lshl_b64 s[0:1], s[0:1], 3
	s_cmp_lt_i32 s2, s7
	s_add_nc_u64 s[0:1], s[10:11], s[0:1]
	s_load_b32 s16, s[0:1], 0x4
	s_cbranch_scc1 .LBB2_4
; %bb.2:
	s_wait_xcnt 0x0
	s_load_b32 s0, s[0:1], 0x0
	s_add_co_i32 s14, s14, 1
	s_lshl_b32 s3, s13, 11
	s_wait_xcnt 0x0
	s_mul_i32 s1, s6, s14
	s_lshl_b32 s6, s12, 7
	s_lshl_b32 s13, s1, 12
	s_add_co_i32 s6, s6, s3
	s_lshl_b32 s1, s1, 5
	s_add_co_i32 s6, s6, s13
	s_lshl_b32 s2, s4, 7
	s_wait_kmcnt 0x0
	v_dual_mov_b32 v2, s16 :: v_dual_bitop2_b32 v0, s6, v0 bitop3:0x54
	s_add_co_i32 s1, s12, s1
	s_lshl_b32 s4, s4, 5
	s_ashr_i32 s3, s2, 31
	s_add_co_i32 s1, s1, s4
	v_add_nc_u32_e32 v0, 0xffffe000, v0
	s_lshl_b64 s[2:3], s[2:3], 2
	s_add_co_i32 s4, s1, s5
	s_add_nc_u64 s[2:3], s[10:11], s[2:3]
	s_add_co_i32 s1, s15, -1
	s_sub_co_i32 s4, s4, 64
.LBB2_3:                                ; =>This Inner Loop Header: Depth=1
	global_load_b32 v7, v0, s[2:3] scale_offset
	s_ashr_i32 s5, s4, 31
	v_max_num_f32_e64 v1, s0, s0
	s_lshl_b64 s[12:13], s[4:5], 3
	s_delay_alu instid0(SALU_CYCLE_1) | instskip(SKIP_1) | instid1(VALU_DEP_1)
	s_add_nc_u64 s[12:13], s[10:11], s[12:13]
	s_load_b64 s[12:13], s[12:13], 0x0
	v_readfirstlane_b32 s5, v1
	v_add_nc_u32_e32 v0, 0xfffff000, v0
	s_wait_kmcnt 0x0
	v_max_num_f32_e64 v1, s12, s12
	s_delay_alu instid0(VALU_DEP_1) | instskip(SKIP_1) | instid1(SALU_CYCLE_3)
	v_readfirstlane_b32 s6, v1
	s_max_num_f32 s5, s5, s6
	s_sub_f32 s0, s0, s5
	s_sub_f32 s6, s12, s5
	s_delay_alu instid0(SALU_CYCLE_2) | instskip(NEXT) | instid1(SALU_CYCLE_2)
	s_mul_f32 s12, s0, 0x3fb8aa3b
	s_mul_f32 s14, s6, 0x3fb8aa3b
	s_delay_alu instid0(SALU_CYCLE_2)
	s_xor_b32 s15, s12, 0x80000000
	s_rndne_f32 s16, s12
	s_fmamk_f32 s15, s0, 0x3fb8aa3b, s15
	s_cmp_nlt_f32 s0, 0xc2ce8ed0
	s_rndne_f32 s17, s14
	s_sub_f32 s12, s12, s16
	s_fmamk_f32 s15, s0, 0x32a5705f, s15
	s_cselect_b32 vcc_lo, -1, 0
	s_cmp_ngt_f32 s0, 0x42b17218
	s_delay_alu instid0(SALU_CYCLE_1) | instskip(SKIP_2) | instid1(SALU_CYCLE_1)
	s_add_f32 s12, s12, s15
	s_cvt_i32_f32 s15, s16
	s_sub_f32 s16, s14, s17
	v_s_exp_f32 s12, s12
	v_nop
	s_delay_alu instid0(TRANS32_DEP_1) | instskip(SKIP_1) | instid1(VALU_DEP_1)
	v_ldexp_f32 v1, s12, s15
	s_cvt_i32_f32 s12, s17
	v_cndmask_b32_e32 v1, 0, v1, vcc_lo
	s_cselect_b32 vcc_lo, -1, 0
	s_cmp_ge_f32 s0, 0xc1a00000
	s_delay_alu instid0(VALU_DEP_1)
	v_cndmask_b32_e32 v1, 0x7f800000, v1, vcc_lo
	s_cselect_b32 vcc_lo, -1, 0
	s_xor_b32 s0, s14, 0x80000000
	s_cmp_nlt_f32 s6, 0xc2ce8ed0
	s_fmamk_f32 s0, s6, 0x3fb8aa3b, s0
	v_cndmask_b32_e32 v10, 0, v1, vcc_lo
	s_delay_alu instid0(SALU_CYCLE_2) | instskip(NEXT) | instid1(SALU_CYCLE_3)
	s_fmamk_f32 s0, s6, 0x32a5705f, s0
	s_add_f32 s0, s16, s0
	s_delay_alu instid0(SALU_CYCLE_3) | instskip(SKIP_1) | instid1(TRANS32_DEP_1)
	v_s_exp_f32 s0, s0
	v_nop
	v_ldexp_f32 v6, s0, s12
	s_cselect_b32 s0, -1, 0
	s_cmp_ngt_f32 s6, 0x42b17218
	s_delay_alu instid0(VALU_DEP_1) | instskip(SKIP_2) | instid1(VALU_DEP_1)
	v_cndmask_b32_e64 v6, 0, v6, s0
	s_cselect_b32 s0, -1, 0
	s_cmp_ge_f32 s6, 0xc1a00000
	v_cndmask_b32_e64 v8, 0x7f800000, v6, s0
	s_cselect_b32 s0, -1, 0
	v_mov_b32_e32 v6, s13
	s_add_co_i32 s1, s1, -1
	s_sub_co_i32 s4, s4, 32
	v_cndmask_b32_e64 v8, 0, v8, s0
	s_cmp_le_i32 s1, s7
	s_mov_b32 s0, s5
	s_wait_loadcnt 0x0
	s_delay_alu instid0(VALU_DEP_1) | instskip(NEXT) | instid1(VALU_DEP_1)
	v_pk_mul_f32 v[6:7], v[6:7], v[8:9] op_sel_hi:[1,0]
	v_pk_fma_f32 v[2:3], v[2:3], v[10:11], v[6:7] op_sel_hi:[1,0,1]
	s_cbranch_scc0 .LBB2_3
	s_branch .LBB2_5
.LBB2_4:
	s_wait_kmcnt 0x0
	v_mov_b32_e32 v2, s16
.LBB2_5:
	v_lshl_add_u64 v[0:1], v[4:5], 2, s[8:9]
	s_wait_loadcnt 0x0
	s_delay_alu instid0(VALU_DEP_2) | instskip(NEXT) | instid1(VALU_DEP_1)
	v_div_scale_f32 v4, null, v2, v2, v3
	v_rcp_f32_e32 v5, v4
	v_nop
	s_delay_alu instid0(TRANS32_DEP_1) | instskip(NEXT) | instid1(VALU_DEP_1)
	v_fma_f32 v6, -v4, v5, 1.0
	v_fmac_f32_e32 v5, v6, v5
	v_div_scale_f32 v6, vcc_lo, v3, v2, v3
	s_delay_alu instid0(VALU_DEP_1) | instskip(NEXT) | instid1(VALU_DEP_1)
	v_mul_f32_e32 v7, v6, v5
	v_fma_f32 v8, -v4, v7, v6
	s_delay_alu instid0(VALU_DEP_1) | instskip(NEXT) | instid1(VALU_DEP_1)
	v_fmac_f32_e32 v7, v8, v5
	v_fma_f32 v4, -v4, v7, v6
	s_delay_alu instid0(VALU_DEP_1) | instskip(NEXT) | instid1(VALU_DEP_1)
	v_div_fmas_f32 v4, v4, v5, v7
	v_div_fixup_f32 v2, v4, v2, v3
	global_store_b32 v[0:1], v2, off
.LBB2_6:
	s_endpgm
	.section	.rodata,"a",@progbits
	.p2align	6, 0x0
	.amdhsa_kernel _ZL33flash_attn_stream_k_fixup_uniformILi128ELi2ELi16EEvPfPK15HIP_vector_typeIfLj2EEiiiiiiS1_IjLj3EES5_S5_
		.amdhsa_group_segment_fixed_size 0
		.amdhsa_private_segment_fixed_size 0
		.amdhsa_kernarg_size 76
		.amdhsa_user_sgpr_count 2
		.amdhsa_user_sgpr_dispatch_ptr 0
		.amdhsa_user_sgpr_queue_ptr 0
		.amdhsa_user_sgpr_kernarg_segment_ptr 1
		.amdhsa_user_sgpr_dispatch_id 0
		.amdhsa_user_sgpr_kernarg_preload_length 0
		.amdhsa_user_sgpr_kernarg_preload_offset 0
		.amdhsa_user_sgpr_private_segment_size 0
		.amdhsa_wavefront_size32 1
		.amdhsa_uses_dynamic_stack 0
		.amdhsa_enable_private_segment 0
		.amdhsa_system_sgpr_workgroup_id_x 1
		.amdhsa_system_sgpr_workgroup_id_y 1
		.amdhsa_system_sgpr_workgroup_id_z 1
		.amdhsa_system_sgpr_workgroup_info 0
		.amdhsa_system_vgpr_workitem_id 0
		.amdhsa_next_free_vgpr 12
		.amdhsa_next_free_sgpr 21
		.amdhsa_named_barrier_count 0
		.amdhsa_reserve_vcc 1
		.amdhsa_float_round_mode_32 0
		.amdhsa_float_round_mode_16_64 0
		.amdhsa_float_denorm_mode_32 3
		.amdhsa_float_denorm_mode_16_64 3
		.amdhsa_fp16_overflow 0
		.amdhsa_memory_ordered 1
		.amdhsa_forward_progress 1
		.amdhsa_inst_pref_size 9
		.amdhsa_round_robin_scheduling 0
		.amdhsa_exception_fp_ieee_invalid_op 0
		.amdhsa_exception_fp_denorm_src 0
		.amdhsa_exception_fp_ieee_div_zero 0
		.amdhsa_exception_fp_ieee_overflow 0
		.amdhsa_exception_fp_ieee_underflow 0
		.amdhsa_exception_fp_ieee_inexact 0
		.amdhsa_exception_int_div_zero 0
	.end_amdhsa_kernel
	.section	.text._ZL33flash_attn_stream_k_fixup_uniformILi128ELi2ELi16EEvPfPK15HIP_vector_typeIfLj2EEiiiiiiS1_IjLj3EES5_S5_,"axG",@progbits,_ZL33flash_attn_stream_k_fixup_uniformILi128ELi2ELi16EEvPfPK15HIP_vector_typeIfLj2EEiiiiiiS1_IjLj3EES5_S5_,comdat
.Lfunc_end2:
	.size	_ZL33flash_attn_stream_k_fixup_uniformILi128ELi2ELi16EEvPfPK15HIP_vector_typeIfLj2EEiiiiiiS1_IjLj3EES5_S5_, .Lfunc_end2-_ZL33flash_attn_stream_k_fixup_uniformILi128ELi2ELi16EEvPfPK15HIP_vector_typeIfLj2EEiiiiiiS1_IjLj3EES5_S5_
                                        ; -- End function
	.set _ZL33flash_attn_stream_k_fixup_uniformILi128ELi2ELi16EEvPfPK15HIP_vector_typeIfLj2EEiiiiiiS1_IjLj3EES5_S5_.num_vgpr, 12
	.set _ZL33flash_attn_stream_k_fixup_uniformILi128ELi2ELi16EEvPfPK15HIP_vector_typeIfLj2EEiiiiiiS1_IjLj3EES5_S5_.num_agpr, 0
	.set _ZL33flash_attn_stream_k_fixup_uniformILi128ELi2ELi16EEvPfPK15HIP_vector_typeIfLj2EEiiiiiiS1_IjLj3EES5_S5_.numbered_sgpr, 21
	.set _ZL33flash_attn_stream_k_fixup_uniformILi128ELi2ELi16EEvPfPK15HIP_vector_typeIfLj2EEiiiiiiS1_IjLj3EES5_S5_.num_named_barrier, 0
	.set _ZL33flash_attn_stream_k_fixup_uniformILi128ELi2ELi16EEvPfPK15HIP_vector_typeIfLj2EEiiiiiiS1_IjLj3EES5_S5_.private_seg_size, 0
	.set _ZL33flash_attn_stream_k_fixup_uniformILi128ELi2ELi16EEvPfPK15HIP_vector_typeIfLj2EEiiiiiiS1_IjLj3EES5_S5_.uses_vcc, 1
	.set _ZL33flash_attn_stream_k_fixup_uniformILi128ELi2ELi16EEvPfPK15HIP_vector_typeIfLj2EEiiiiiiS1_IjLj3EES5_S5_.uses_flat_scratch, 0
	.set _ZL33flash_attn_stream_k_fixup_uniformILi128ELi2ELi16EEvPfPK15HIP_vector_typeIfLj2EEiiiiiiS1_IjLj3EES5_S5_.has_dyn_sized_stack, 0
	.set _ZL33flash_attn_stream_k_fixup_uniformILi128ELi2ELi16EEvPfPK15HIP_vector_typeIfLj2EEiiiiiiS1_IjLj3EES5_S5_.has_recursion, 0
	.set _ZL33flash_attn_stream_k_fixup_uniformILi128ELi2ELi16EEvPfPK15HIP_vector_typeIfLj2EEiiiiiiS1_IjLj3EES5_S5_.has_indirect_call, 0
	.section	.AMDGPU.csdata,"",@progbits
; Kernel info:
; codeLenInByte = 1092
; TotalNumSgprs: 23
; NumVgprs: 12
; ScratchSize: 0
; MemoryBound: 0
; FloatMode: 240
; IeeeMode: 1
; LDSByteSize: 0 bytes/workgroup (compile time only)
; SGPRBlocks: 0
; VGPRBlocks: 0
; NumSGPRsForWavesPerEU: 23
; NumVGPRsForWavesPerEU: 12
; NamedBarCnt: 0
; Occupancy: 16
; WaveLimiterHint : 0
; COMPUTE_PGM_RSRC2:SCRATCH_EN: 0
; COMPUTE_PGM_RSRC2:USER_SGPR: 2
; COMPUTE_PGM_RSRC2:TRAP_HANDLER: 0
; COMPUTE_PGM_RSRC2:TGID_X_EN: 1
; COMPUTE_PGM_RSRC2:TGID_Y_EN: 1
; COMPUTE_PGM_RSRC2:TGID_Z_EN: 1
; COMPUTE_PGM_RSRC2:TIDIG_COMP_CNT: 0
	.section	.text._ZL33flash_attn_stream_k_fixup_generalILi128ELi2ELi16EEvPfPK15HIP_vector_typeIfLj2EEiiiiS1_IjLj3EES5_S5_S5_,"axG",@progbits,_ZL33flash_attn_stream_k_fixup_generalILi128ELi2ELi16EEvPfPK15HIP_vector_typeIfLj2EEiiiiS1_IjLj3EES5_S5_S5_,comdat
	.globl	_ZL33flash_attn_stream_k_fixup_generalILi128ELi2ELi16EEvPfPK15HIP_vector_typeIfLj2EEiiiiS1_IjLj3EES5_S5_S5_ ; -- Begin function _ZL33flash_attn_stream_k_fixup_generalILi128ELi2ELi16EEvPfPK15HIP_vector_typeIfLj2EEiiiiS1_IjLj3EES5_S5_S5_
	.p2align	8
	.type	_ZL33flash_attn_stream_k_fixup_generalILi128ELi2ELi16EEvPfPK15HIP_vector_typeIfLj2EEiiiiS1_IjLj3EES5_S5_S5_,@function
_ZL33flash_attn_stream_k_fixup_generalILi128ELi2ELi16EEvPfPK15HIP_vector_typeIfLj2EEiiiiS1_IjLj3EES5_S5_S5_: ; @_ZL33flash_attn_stream_k_fixup_generalILi128ELi2ELi16EEvPfPK15HIP_vector_typeIfLj2EEiiiiS1_IjLj3EES5_S5_S5_
; %bb.0:
	s_clause 0x1
	s_load_b128 s[4:7], s[0:1], 0x10
	s_load_b32 s16, s[0:1], 0x50
	s_bfe_u32 s2, ttmp6, 0x4000c
	s_and_b32 s3, ttmp6, 15
	s_add_co_i32 s2, s2, 1
	s_getreg_b32 s15, hwreg(HW_REG_IB_STS2, 6, 4)
	s_mul_i32 s2, ttmp9, s2
	s_mov_b32 s17, 0
	s_add_co_i32 s3, s3, s2
	s_cmp_eq_u32 s15, 0
	s_cselect_b32 s2, ttmp9, s3
	s_delay_alu instid0(SALU_CYCLE_1) | instskip(SKIP_3) | instid1(SALU_CYCLE_1)
	s_ashr_i32 s3, s2, 31
	s_wait_kmcnt 0x0
	s_ashr_i32 s19, s7, 31
	s_mov_b32 s18, s7
	s_mul_u64 s[8:9], s[18:19], s[2:3]
	s_delay_alu instid0(SALU_CYCLE_1) | instskip(NEXT) | instid1(SALU_CYCLE_1)
	s_and_b64 s[10:11], s[8:9], 0xffffffff00000000
	s_cmp_lg_u64 s[10:11], 0
	s_cbranch_scc0 .LBB3_21
; %bb.1:
	s_add_nc_u64 s[10:11], s[16:17], 0
	s_mov_b32 s23, s17
	s_xor_b64 s[10:11], s[10:11], 0
	s_mov_b32 s27, s17
	s_cvt_f32_u32 s3, s10
	s_cvt_f32_u32 s7, s11
	s_sub_nc_u64 s[20:21], 0, s[10:11]
	s_delay_alu instid0(SALU_CYCLE_2) | instskip(NEXT) | instid1(SALU_CYCLE_3)
	s_fmamk_f32 s3, s7, 0x4f800000, s3
	v_s_rcp_f32 s3, s3
	s_delay_alu instid0(TRANS32_DEP_1) | instskip(NEXT) | instid1(SALU_CYCLE_3)
	s_mul_f32 s3, s3, 0x5f7ffffc
	s_mul_f32 s7, s3, 0x2f800000
	s_delay_alu instid0(SALU_CYCLE_3) | instskip(NEXT) | instid1(SALU_CYCLE_3)
	s_trunc_f32 s7, s7
	s_fmamk_f32 s3, s7, 0xcf800000, s3
	s_cvt_u32_f32 s13, s7
	s_delay_alu instid0(SALU_CYCLE_2) | instskip(NEXT) | instid1(SALU_CYCLE_3)
	s_cvt_u32_f32 s12, s3
	s_mul_u64 s[24:25], s[20:21], s[12:13]
	s_delay_alu instid0(SALU_CYCLE_1)
	s_mul_hi_u32 s29, s12, s25
	s_mul_i32 s28, s12, s25
	s_mul_hi_u32 s22, s12, s24
	s_mul_i32 s7, s13, s24
	s_add_nc_u64 s[22:23], s[22:23], s[28:29]
	s_mul_hi_u32 s3, s13, s24
	s_mul_hi_u32 s14, s13, s25
	s_add_co_u32 s7, s22, s7
	s_add_co_ci_u32 s26, s23, s3
	s_mul_i32 s24, s13, s25
	s_add_co_ci_u32 s25, s14, 0
	s_delay_alu instid0(SALU_CYCLE_1) | instskip(SKIP_3) | instid1(SALU_CYCLE_1)
	s_add_nc_u64 s[22:23], s[26:27], s[24:25]
	s_mov_b32 s25, s17
	s_add_co_u32 s12, s12, s22
	s_cselect_b32 s3, -1, 0
	s_cmp_lg_u32 s3, 0
	s_add_co_ci_u32 s13, s13, s23
	s_mov_b32 s23, s17
	s_mul_u64 s[20:21], s[20:21], s[12:13]
	s_delay_alu instid0(SALU_CYCLE_1)
	s_mul_hi_u32 s27, s12, s21
	s_mul_i32 s26, s12, s21
	s_mul_hi_u32 s22, s12, s20
	s_mul_i32 s7, s13, s20
	s_add_nc_u64 s[22:23], s[22:23], s[26:27]
	s_mul_hi_u32 s3, s13, s20
	s_mul_hi_u32 s14, s13, s21
	s_add_co_u32 s7, s22, s7
	s_add_co_ci_u32 s24, s23, s3
	s_mul_i32 s20, s13, s21
	s_add_co_ci_u32 s21, s14, 0
	s_mov_b32 s23, s17
	s_add_nc_u64 s[20:21], s[24:25], s[20:21]
	s_delay_alu instid0(SALU_CYCLE_1) | instskip(SKIP_1) | instid1(SALU_CYCLE_1)
	s_add_co_u32 s3, s12, s20
	s_cselect_b32 s7, -1, 0
	s_cmp_lg_u32 s7, 0
	s_add_co_ci_u32 s7, s13, s21
	s_ashr_i32 s12, s9, 31
	s_delay_alu instid0(SALU_CYCLE_1) | instskip(NEXT) | instid1(SALU_CYCLE_1)
	s_mov_b32 s13, s12
	s_add_nc_u64 s[20:21], s[8:9], s[12:13]
	s_delay_alu instid0(SALU_CYCLE_1) | instskip(NEXT) | instid1(SALU_CYCLE_1)
	s_xor_b64 s[20:21], s[20:21], s[12:13]
	s_mul_hi_u32 s27, s20, s7
	s_mul_i32 s26, s20, s7
	s_mul_hi_u32 s22, s20, s3
	s_mul_hi_u32 s14, s21, s3
	s_mul_i32 s3, s21, s3
	s_add_nc_u64 s[22:23], s[22:23], s[26:27]
	s_mul_hi_u32 s9, s21, s7
	s_add_co_u32 s3, s22, s3
	s_add_co_ci_u32 s24, s23, s14
	s_mul_i32 s26, s21, s7
	s_add_co_ci_u32 s27, s9, 0
	s_delay_alu instid0(SALU_CYCLE_1) | instskip(NEXT) | instid1(SALU_CYCLE_1)
	s_add_nc_u64 s[22:23], s[24:25], s[26:27]
	s_and_b64 s[24:25], s[22:23], 0xffffffff00000000
	s_delay_alu instid0(SALU_CYCLE_1) | instskip(NEXT) | instid1(SALU_CYCLE_1)
	s_or_b32 s24, s24, s22
	s_mul_u64 s[22:23], s[10:11], s[24:25]
	s_add_nc_u64 s[26:27], s[24:25], 1
	s_sub_co_u32 s3, s20, s22
	s_cselect_b32 s7, -1, 0
	s_sub_co_i32 s9, s21, s23
	s_cmp_lg_u32 s7, 0
	s_add_nc_u64 s[28:29], s[24:25], 2
	s_sub_co_ci_u32 s9, s9, s11
	s_sub_co_u32 s14, s3, s10
	s_cselect_b32 s20, -1, 0
	s_delay_alu instid0(SALU_CYCLE_1) | instskip(SKIP_1) | instid1(SALU_CYCLE_1)
	s_cmp_lg_u32 s20, 0
	s_sub_co_ci_u32 s9, s9, 0
	s_cmp_ge_u32 s9, s11
	s_cselect_b32 s20, -1, 0
	s_cmp_ge_u32 s14, s10
	s_cselect_b32 s14, -1, 0
	s_cmp_eq_u32 s9, s11
	s_cselect_b32 s9, s14, s20
	s_delay_alu instid0(SALU_CYCLE_1) | instskip(SKIP_4) | instid1(SALU_CYCLE_1)
	s_cmp_lg_u32 s9, 0
	s_cselect_b32 s9, s28, s26
	s_cselect_b32 s14, s29, s27
	s_cmp_lg_u32 s7, 0
	s_sub_co_ci_u32 s7, s21, s23
	s_cmp_ge_u32 s7, s11
	s_cselect_b32 s20, -1, 0
	s_cmp_ge_u32 s3, s10
	s_cselect_b32 s3, -1, 0
	s_cmp_eq_u32 s7, s11
	s_cselect_b32 s3, s3, s20
	s_delay_alu instid0(SALU_CYCLE_1) | instskip(SKIP_4) | instid1(SALU_CYCLE_1)
	s_cmp_lg_u32 s3, 0
	s_mov_b32 s3, s17
	s_cselect_b32 s11, s14, s25
	s_cselect_b32 s10, s9, s24
	s_xor_b64 s[12:13], s[12:13], 0
	s_xor_b64 s[10:11], s[10:11], s[12:13]
	s_delay_alu instid0(SALU_CYCLE_1)
	s_sub_nc_u64 s[20:21], s[10:11], s[12:13]
	s_and_not1_b32 vcc_lo, exec_lo, s3
	s_cbranch_vccnz .LBB3_3
.LBB3_2:
	v_cvt_f32_u32_e32 v1, s16
	s_sub_co_i32 s7, 0, s16
	s_mov_b32 s21, 0
	s_delay_alu instid0(VALU_DEP_1) | instskip(SKIP_1) | instid1(TRANS32_DEP_1)
	v_rcp_iflag_f32_e32 v1, v1
	v_nop
	v_mul_f32_e32 v1, 0x4f7ffffe, v1
	s_delay_alu instid0(VALU_DEP_1) | instskip(NEXT) | instid1(VALU_DEP_1)
	v_cvt_u32_f32_e32 v1, v1
	v_readfirstlane_b32 s3, v1
	s_mul_i32 s7, s7, s3
	s_delay_alu instid0(SALU_CYCLE_1) | instskip(NEXT) | instid1(SALU_CYCLE_1)
	s_mul_hi_u32 s7, s3, s7
	s_add_co_i32 s3, s3, s7
	s_delay_alu instid0(SALU_CYCLE_1) | instskip(NEXT) | instid1(SALU_CYCLE_1)
	s_mul_hi_u32 s3, s8, s3
	s_mul_i32 s7, s3, s16
	s_delay_alu instid0(SALU_CYCLE_1)
	s_sub_co_i32 s7, s8, s7
	s_add_co_i32 s8, s3, 1
	s_sub_co_i32 s9, s7, s16
	s_cmp_ge_u32 s7, s16
	s_cselect_b32 s3, s8, s3
	s_cselect_b32 s7, s9, s7
	s_add_co_i32 s8, s3, 1
	s_cmp_ge_u32 s7, s16
	s_cselect_b32 s20, s8, s3
.LBB3_3:
	s_add_co_i32 s8, s2, 1
	s_delay_alu instid0(SALU_CYCLE_1) | instskip(NEXT) | instid1(SALU_CYCLE_1)
	s_ashr_i32 s9, s8, 31
	s_mul_u64 s[8:9], s[18:19], s[8:9]
	s_delay_alu instid0(SALU_CYCLE_1) | instskip(NEXT) | instid1(SALU_CYCLE_1)
	s_and_b64 s[10:11], s[8:9], 0xffffffff00000000
	s_cmp_lg_u64 s[10:11], 0
	s_cbranch_scc0 .LBB3_22
; %bb.4:
	s_add_nc_u64 s[10:11], s[16:17], 0
	s_delay_alu instid0(SALU_CYCLE_1) | instskip(SKIP_4) | instid1(SALU_CYCLE_2)
	s_xor_b64 s[12:13], s[10:11], 0
	s_mov_b32 s11, 0
	s_cvt_f32_u32 s3, s12
	s_cvt_f32_u32 s7, s13
	s_sub_nc_u64 s[24:25], 0, s[12:13]
	s_fmamk_f32 s3, s7, 0x4f800000, s3
	s_delay_alu instid0(SALU_CYCLE_3) | instskip(NEXT) | instid1(TRANS32_DEP_1)
	v_s_rcp_f32 s3, s3
	s_mul_f32 s3, s3, 0x5f7ffffc
	s_delay_alu instid0(SALU_CYCLE_3) | instskip(NEXT) | instid1(SALU_CYCLE_3)
	s_mul_f32 s7, s3, 0x2f800000
	s_trunc_f32 s7, s7
	s_delay_alu instid0(SALU_CYCLE_3) | instskip(SKIP_1) | instid1(SALU_CYCLE_2)
	s_fmamk_f32 s3, s7, 0xcf800000, s3
	s_cvt_u32_f32 s23, s7
	s_cvt_u32_f32 s22, s3
	s_delay_alu instid0(SALU_CYCLE_3) | instskip(NEXT) | instid1(SALU_CYCLE_1)
	s_mul_u64 s[26:27], s[24:25], s[22:23]
	s_mul_hi_u32 s29, s22, s27
	s_mul_i32 s28, s22, s27
	s_mul_hi_u32 s10, s22, s26
	s_mul_i32 s7, s23, s26
	s_add_nc_u64 s[28:29], s[10:11], s[28:29]
	s_mul_hi_u32 s3, s23, s26
	s_mul_hi_u32 s14, s23, s27
	s_add_co_u32 s7, s28, s7
	s_add_co_ci_u32 s10, s29, s3
	s_mul_i32 s26, s23, s27
	s_add_co_ci_u32 s27, s14, 0
	s_delay_alu instid0(SALU_CYCLE_1) | instskip(NEXT) | instid1(SALU_CYCLE_1)
	s_add_nc_u64 s[26:27], s[10:11], s[26:27]
	s_add_co_u32 s22, s22, s26
	s_cselect_b32 s3, -1, 0
	s_delay_alu instid0(SALU_CYCLE_1) | instskip(SKIP_1) | instid1(SALU_CYCLE_1)
	s_cmp_lg_u32 s3, 0
	s_add_co_ci_u32 s23, s23, s27
	s_mul_u64 s[24:25], s[24:25], s[22:23]
	s_delay_alu instid0(SALU_CYCLE_1)
	s_mul_hi_u32 s27, s22, s25
	s_mul_i32 s26, s22, s25
	s_mul_hi_u32 s10, s22, s24
	s_mul_i32 s7, s23, s24
	s_add_nc_u64 s[26:27], s[10:11], s[26:27]
	s_mul_hi_u32 s3, s23, s24
	s_mul_hi_u32 s14, s23, s25
	s_add_co_u32 s7, s26, s7
	s_add_co_ci_u32 s10, s27, s3
	s_mul_i32 s24, s23, s25
	s_add_co_ci_u32 s25, s14, 0
	s_delay_alu instid0(SALU_CYCLE_1) | instskip(NEXT) | instid1(SALU_CYCLE_1)
	s_add_nc_u64 s[24:25], s[10:11], s[24:25]
	s_add_co_u32 s3, s22, s24
	s_cselect_b32 s7, -1, 0
	s_delay_alu instid0(SALU_CYCLE_1) | instskip(SKIP_2) | instid1(SALU_CYCLE_1)
	s_cmp_lg_u32 s7, 0
	s_add_co_ci_u32 s7, s23, s25
	s_ashr_i32 s22, s9, 31
	s_mov_b32 s23, s22
	s_delay_alu instid0(SALU_CYCLE_1) | instskip(NEXT) | instid1(SALU_CYCLE_1)
	s_add_nc_u64 s[24:25], s[8:9], s[22:23]
	s_xor_b64 s[24:25], s[24:25], s[22:23]
	s_delay_alu instid0(SALU_CYCLE_1)
	s_mul_hi_u32 s27, s24, s7
	s_mul_i32 s26, s24, s7
	s_mul_hi_u32 s10, s24, s3
	s_mul_hi_u32 s14, s25, s3
	s_mul_i32 s3, s25, s3
	s_add_nc_u64 s[26:27], s[10:11], s[26:27]
	s_mul_hi_u32 s9, s25, s7
	s_add_co_u32 s3, s26, s3
	s_add_co_ci_u32 s10, s27, s14
	s_mul_i32 s28, s25, s7
	s_add_co_ci_u32 s29, s9, 0
	s_delay_alu instid0(SALU_CYCLE_1) | instskip(NEXT) | instid1(SALU_CYCLE_1)
	s_add_nc_u64 s[26:27], s[10:11], s[28:29]
	s_and_b64 s[28:29], s[26:27], 0xffffffff00000000
	s_delay_alu instid0(SALU_CYCLE_1) | instskip(NEXT) | instid1(SALU_CYCLE_1)
	s_or_b32 s28, s28, s26
	s_mul_u64 s[26:27], s[12:13], s[28:29]
	s_add_nc_u64 s[30:31], s[28:29], 1
	s_sub_co_u32 s3, s24, s26
	s_cselect_b32 s7, -1, 0
	s_sub_co_i32 s9, s25, s27
	s_cmp_lg_u32 s7, 0
	s_add_nc_u64 s[34:35], s[28:29], 2
	s_sub_co_ci_u32 s9, s9, s13
	s_sub_co_u32 s10, s3, s12
	s_cselect_b32 s14, -1, 0
	s_delay_alu instid0(SALU_CYCLE_1) | instskip(SKIP_1) | instid1(SALU_CYCLE_1)
	s_cmp_lg_u32 s14, 0
	s_sub_co_ci_u32 s9, s9, 0
	s_cmp_ge_u32 s9, s13
	s_cselect_b32 s14, -1, 0
	s_cmp_ge_u32 s10, s12
	s_cselect_b32 s10, -1, 0
	s_cmp_eq_u32 s9, s13
	s_cselect_b32 s9, s10, s14
	s_delay_alu instid0(SALU_CYCLE_1) | instskip(SKIP_4) | instid1(SALU_CYCLE_1)
	s_cmp_lg_u32 s9, 0
	s_cselect_b32 s9, s34, s30
	s_cselect_b32 s10, s35, s31
	s_cmp_lg_u32 s7, 0
	s_sub_co_ci_u32 s7, s25, s27
	s_cmp_ge_u32 s7, s13
	s_cselect_b32 s14, -1, 0
	s_cmp_ge_u32 s3, s12
	s_cselect_b32 s3, -1, 0
	s_cmp_eq_u32 s7, s13
	s_cselect_b32 s3, s3, s14
	s_delay_alu instid0(SALU_CYCLE_1) | instskip(SKIP_3) | instid1(SALU_CYCLE_1)
	s_cmp_lg_u32 s3, 0
	s_cselect_b32 s13, s10, s29
	s_cselect_b32 s12, s9, s28
	s_xor_b64 s[22:23], s[22:23], 0
	s_xor_b64 s[12:13], s[12:13], s[22:23]
	s_delay_alu instid0(SALU_CYCLE_1)
	s_sub_nc_u64 s[24:25], s[12:13], s[22:23]
	s_load_b96 s[12:14], s[0:1], 0x44
	s_cbranch_execnz .LBB3_6
.LBB3_5:
	v_cvt_f32_u32_e32 v1, s16
	s_sub_co_i32 s7, 0, s16
	s_delay_alu instid0(VALU_DEP_1) | instskip(SKIP_1) | instid1(TRANS32_DEP_1)
	v_rcp_iflag_f32_e32 v1, v1
	v_nop
	v_mul_f32_e32 v1, 0x4f7ffffe, v1
	s_delay_alu instid0(VALU_DEP_1) | instskip(NEXT) | instid1(VALU_DEP_1)
	v_cvt_u32_f32_e32 v1, v1
	v_readfirstlane_b32 s3, v1
	s_mul_i32 s7, s7, s3
	s_delay_alu instid0(SALU_CYCLE_1) | instskip(NEXT) | instid1(SALU_CYCLE_1)
	s_mul_hi_u32 s7, s3, s7
	s_add_co_i32 s3, s3, s7
	s_delay_alu instid0(SALU_CYCLE_1) | instskip(NEXT) | instid1(SALU_CYCLE_1)
	s_mul_hi_u32 s3, s8, s3
	s_mul_i32 s7, s3, s16
	s_delay_alu instid0(SALU_CYCLE_1)
	s_sub_co_i32 s7, s8, s7
	s_add_co_i32 s8, s3, 1
	s_sub_co_i32 s9, s7, s16
	s_cmp_ge_u32 s7, s16
	s_cselect_b32 s3, s8, s3
	s_cselect_b32 s7, s9, s7
	s_add_co_i32 s8, s3, 1
	s_cmp_ge_u32 s7, s16
	s_cselect_b32 s24, s8, s3
.LBB3_6:
	s_delay_alu instid0(SALU_CYCLE_1)
	s_cmp_eq_u32 s20, s24
	s_mov_b64 s[8:9], 0xffffffff
	s_cselect_b32 s3, -1, 0
	s_and_b64 s[8:9], s[20:21], s[8:9]
	s_mov_b32 s23, 0
	s_wait_kmcnt 0x0
	s_mov_b32 s22, s12
	s_mov_b32 s25, s23
	s_mul_u64 s[10:11], s[8:9], s[22:23]
	s_delay_alu instid0(SALU_CYCLE_1) | instskip(SKIP_2) | instid1(SALU_CYCLE_1)
	s_add_co_i32 s7, s11, s20
	s_mul_u64 s[10:11], s[24:25], s[22:23]
	s_lshr_b32 s12, s7, s13
	s_mul_i32 s7, s12, s14
	s_delay_alu instid0(SALU_CYCLE_1) | instskip(SKIP_2) | instid1(SALU_CYCLE_1)
	s_cmp_eq_u32 s7, s20
	s_cselect_b32 s7, -1, 0
	s_add_co_i32 s10, s11, s24
	s_lshr_b32 s10, s10, s13
	s_delay_alu instid0(SALU_CYCLE_1)
	s_cmp_eq_u32 s12, s10
	s_mul_i32 s10, s10, s14
	s_cselect_b32 s11, -1, 0
	s_cmp_lg_u32 s10, s24
	s_cselect_b32 s10, -1, 0
	s_or_b32 s3, s3, s7
	s_and_b32 s10, s11, s10
	s_delay_alu instid0(SALU_CYCLE_1) | instskip(NEXT) | instid1(SALU_CYCLE_1)
	s_or_b32 s3, s3, s10
	s_and_b32 vcc_lo, exec_lo, s3
	s_cbranch_vccnz .LBB3_24
; %bb.7:
	s_load_b256 s[24:31], s[0:1], 0x20
	s_bfe_u32 s7, ttmp6, 0x40014
	s_bfe_u32 s33, ttmp6, 0x40010
	s_lshr_b32 s3, ttmp7, 16
	s_add_co_i32 s7, s7, 1
	s_and_b32 s21, ttmp7, 0xffff
	s_add_co_i32 s33, s33, 1
	s_bfe_u32 s10, ttmp6, 0x40008
	s_mul_i32 s7, s3, s7
	s_bfe_u32 s34, ttmp6, 0x40004
	s_mul_i32 s33, s21, s33
	s_mov_b32 s11, s23
	s_add_co_i32 s35, s10, s7
	s_add_co_i32 s34, s34, s33
	s_cmp_eq_u32 s15, 0
	s_cselect_b32 s7, s21, s34
	s_cselect_b32 s3, s3, s35
	s_wait_kmcnt 0x0
	s_mov_b32 s10, s24
	s_delay_alu instid0(SALU_CYCLE_1) | instskip(NEXT) | instid1(SALU_CYCLE_1)
	s_mul_u64 s[8:9], s[8:9], s[10:11]
	s_add_co_i32 s8, s9, s20
	s_load_b32 s9, s[0:1], 0x40
	s_lshr_b32 s8, s8, s25
	s_delay_alu instid0(SALU_CYCLE_1) | instskip(NEXT) | instid1(SALU_CYCLE_1)
	s_mul_i32 s10, s8, s26
	s_sub_co_i32 s10, s20, s10
	s_delay_alu instid0(SALU_CYCLE_1) | instskip(NEXT) | instid1(SALU_CYCLE_1)
	s_mul_hi_u32 s11, s10, s27
	s_add_co_i32 s11, s10, s11
	s_delay_alu instid0(SALU_CYCLE_1) | instskip(NEXT) | instid1(SALU_CYCLE_1)
	s_lshr_b32 s15, s11, s28
	s_mul_i32 s11, s15, s29
	s_delay_alu instid0(SALU_CYCLE_1) | instskip(NEXT) | instid1(SALU_CYCLE_1)
	s_sub_co_i32 s10, s10, s11
	s_mul_hi_u32 s11, s10, s30
	s_delay_alu instid0(SALU_CYCLE_1) | instskip(NEXT) | instid1(SALU_CYCLE_1)
	s_add_co_i32 s11, s10, s11
	s_lshr_b32 s26, s11, s31
	s_mov_b32 s11, s23
	s_wait_kmcnt 0x0
	s_mul_i32 s9, s26, s9
	s_delay_alu instid0(SALU_CYCLE_1) | instskip(NEXT) | instid1(SALU_CYCLE_1)
	s_sub_co_i32 s10, s10, s9
	s_mul_u64 s[24:25], s[10:11], s[22:23]
	s_lshl_b32 s24, s26, 4
	s_add_co_i32 s9, s10, s25
	s_delay_alu instid0(SALU_CYCLE_1) | instskip(NEXT) | instid1(SALU_CYCLE_1)
	s_lshr_b32 s21, s9, s13
	s_lshl_b32 s9, s21, 1
	s_delay_alu instid0(SALU_CYCLE_1) | instskip(NEXT) | instid1(SALU_CYCLE_1)
	s_add_co_i32 s9, s9, s7
	s_cmp_lt_i32 s9, s4
	s_cselect_b32 s9, -1, 0
	s_add_co_i32 s10, s24, s3
	s_delay_alu instid0(SALU_CYCLE_1) | instskip(SKIP_1) | instid1(SALU_CYCLE_1)
	s_cmp_lt_i32 s10, s6
	s_cselect_b32 s10, -1, 0
	s_and_b32 s9, s9, s10
	s_delay_alu instid0(SALU_CYCLE_1)
	s_and_not1_b32 vcc_lo, exec_lo, s9
	s_cbranch_vccnz .LBB3_24
; %bb.8:
	s_mul_i32 s4, s8, s4
	s_load_b128 s[8:11], s[0:1], 0x0
	s_wait_xcnt 0x0
	s_add_co_i32 s0, s4, s7
	s_mul_i32 s15, s15, s6
	s_mul_i32 s0, s0, s5
	s_mul_i32 s1, s5, s21
	s_add_co_i32 s0, s0, s3
	s_lshl_b32 s1, s1, 8
	s_add_co_i32 s0, s0, s15
	s_lshl_b32 s15, s7, 4
	s_add_co_i32 s0, s0, s24
	s_add_co_i32 s15, s15, s3
	s_lshl_b32 s0, s0, 7
	v_lshl_or_b32 v6, s15, 7, v0
	s_add_co_i32 s1, s1, s0
	v_cvt_f32_u32_e32 v4, s16
	v_or_b32_e32 v2, s1, v0
	s_add_nc_u64 s[0:1], s[16:17], 0
	s_lshl_b32 s24, s16, 7
	s_xor_b64 s[6:7], s[0:1], 0
	s_lshl_b32 s0, s2, 5
	s_cvt_f32_u32 s3, s6
	s_add_co_i32 s0, s15, s0
	s_cvt_f32_u32 s4, s7
	s_ashr_i32 s1, s0, 31
	v_rcp_iflag_f32_e32 v4, v4
	s_lshl_b64 s[0:1], s[0:1], 3
	s_fmamk_f32 s3, s4, 0x4f800000, s3
	s_wait_kmcnt 0x0
	s_add_nc_u64 s[0:1], s[10:11], s[0:1]
	s_mov_b32 s25, 0
	s_load_b64 s[28:29], s[0:1], 0x0
	v_s_rcp_f32 s3, s3
	s_wait_xcnt 0x0
	s_lshl_b64 s[0:1], s[24:25], 2
	s_add_co_i32 s36, s2, -1
	s_add_nc_u64 s[26:27], s[10:11], s[0:1]
	s_sub_nc_u64 s[34:35], 0, s[6:7]
	v_mul_f32_e32 v4, 0x4f7ffffe, v4
	s_delay_alu instid0(TRANS32_DEP_1) | instskip(NEXT) | instid1(VALU_DEP_1)
	s_mul_f32 s3, s3, 0x5f7ffffc
	v_cvt_u32_f32_e32 v7, v4
	s_delay_alu instid0(SALU_CYCLE_2) | instskip(NEXT) | instid1(SALU_CYCLE_3)
	s_mul_f32 s4, s3, 0x2f800000
	s_trunc_f32 s4, s4
	s_wait_kmcnt 0x0
	v_mov_b32_e32 v0, s29
	global_load_b32 v1, v2, s[8:9] scale_offset
	v_ashrrev_i32_e32 v3, 31, v2
	s_fmamk_f32 s0, s4, 0xcf800000, s3
	s_cvt_u32_f32 s31, s4
	s_wait_xcnt 0x0
	s_delay_alu instid0(VALU_DEP_1)
	v_lshl_add_u64 v[2:3], v[2:3], 2, s[8:9]
	s_cvt_u32_f32 s30, s0
	s_mov_b64 s[8:9], 0xffffffff
.LBB3_9:                                ; =>This Inner Loop Header: Depth=1
	s_ashr_i32 s37, s36, 31
                                        ; implicit-def: $sgpr40_sgpr41
	s_delay_alu instid0(SALU_CYCLE_1) | instskip(NEXT) | instid1(SALU_CYCLE_1)
	s_mul_u64 s[0:1], s[36:37], s[18:19]
	s_and_b64 s[2:3], s[0:1], 0xffffffff00000000
	s_delay_alu instid0(SALU_CYCLE_1)
	s_cmp_lg_u64 s[2:3], 0
	s_mov_b32 s2, -1
	s_cbranch_scc0 .LBB3_11
; %bb.10:                               ;   in Loop: Header=BB3_9 Depth=1
	s_mul_u64 s[2:3], s[34:35], s[30:31]
	s_delay_alu instid0(SALU_CYCLE_1)
	s_mul_hi_u32 s5, s30, s3
	s_mul_i32 s4, s30, s3
	s_mul_hi_u32 s24, s30, s2
	s_mul_hi_u32 s17, s31, s2
	s_add_nc_u64 s[4:5], s[24:25], s[4:5]
	s_mul_i32 s2, s31, s2
	s_mul_hi_u32 s21, s31, s3
	s_add_co_u32 s2, s4, s2
	s_add_co_ci_u32 s24, s5, s17
	s_add_co_ci_u32 s5, s21, 0
	s_mul_i32 s4, s31, s3
	s_delay_alu instid0(SALU_CYCLE_1) | instskip(NEXT) | instid1(SALU_CYCLE_1)
	s_add_nc_u64 s[2:3], s[24:25], s[4:5]
	s_add_co_u32 s2, s30, s2
	s_cselect_b32 s4, -1, 0
	s_delay_alu instid0(SALU_CYCLE_1) | instskip(SKIP_1) | instid1(SALU_CYCLE_1)
	s_cmp_lg_u32 s4, 0
	s_add_co_ci_u32 s3, s31, s3
	s_mul_u64 s[4:5], s[34:35], s[2:3]
	s_delay_alu instid0(SALU_CYCLE_1)
	s_mul_hi_u32 s39, s2, s5
	s_mul_i32 s38, s2, s5
	s_mul_hi_u32 s24, s2, s4
	s_mul_hi_u32 s17, s3, s4
	s_mul_i32 s4, s3, s4
	s_add_nc_u64 s[38:39], s[24:25], s[38:39]
	s_mul_hi_u32 s21, s3, s5
	s_add_co_u32 s4, s38, s4
	s_add_co_ci_u32 s24, s39, s17
	s_mul_i32 s4, s3, s5
	s_add_co_ci_u32 s5, s21, 0
	s_delay_alu instid0(SALU_CYCLE_1) | instskip(NEXT) | instid1(SALU_CYCLE_1)
	s_add_nc_u64 s[4:5], s[24:25], s[4:5]
	s_add_co_u32 s17, s2, s4
	s_cselect_b32 s2, -1, 0
	s_delay_alu instid0(SALU_CYCLE_1) | instskip(SKIP_2) | instid1(SALU_CYCLE_1)
	s_cmp_lg_u32 s2, 0
	s_add_co_ci_u32 s21, s3, s5
	s_ashr_i32 s2, s1, 31
	s_mov_b32 s3, s2
	s_delay_alu instid0(SALU_CYCLE_1) | instskip(NEXT) | instid1(SALU_CYCLE_1)
	s_add_nc_u64 s[4:5], s[0:1], s[2:3]
	s_xor_b64 s[4:5], s[4:5], s[2:3]
	s_delay_alu instid0(SALU_CYCLE_1)
	s_mul_hi_u32 s39, s4, s21
	s_mul_i32 s38, s4, s21
	s_mul_hi_u32 s24, s4, s17
	s_mul_hi_u32 s29, s5, s17
	s_mul_i32 s17, s5, s17
	s_add_nc_u64 s[38:39], s[24:25], s[38:39]
	s_mul_hi_u32 s1, s5, s21
	s_add_co_u32 s17, s38, s17
	s_add_co_ci_u32 s24, s39, s29
	s_mul_i32 s40, s5, s21
	s_add_co_ci_u32 s41, s1, 0
	s_delay_alu instid0(SALU_CYCLE_1) | instskip(NEXT) | instid1(SALU_CYCLE_1)
	s_add_nc_u64 s[38:39], s[24:25], s[40:41]
	s_and_b64 s[40:41], s[38:39], 0xffffffff00000000
	s_delay_alu instid0(SALU_CYCLE_1) | instskip(NEXT) | instid1(SALU_CYCLE_1)
	s_or_b32 s40, s40, s38
	s_mul_u64 s[38:39], s[6:7], s[40:41]
	s_add_nc_u64 s[42:43], s[40:41], 1
	s_sub_co_u32 s1, s4, s38
	s_cselect_b32 s4, -1, 0
	s_sub_co_i32 s17, s5, s39
	s_cmp_lg_u32 s4, 0
	s_add_nc_u64 s[44:45], s[40:41], 2
	s_sub_co_ci_u32 s17, s17, s7
	s_sub_co_u32 s21, s1, s6
	s_cselect_b32 s24, -1, 0
	s_delay_alu instid0(SALU_CYCLE_1) | instskip(SKIP_1) | instid1(SALU_CYCLE_1)
	s_cmp_lg_u32 s24, 0
	s_sub_co_ci_u32 s17, s17, 0
	s_cmp_ge_u32 s17, s7
	s_cselect_b32 s24, -1, 0
	s_cmp_ge_u32 s21, s6
	s_cselect_b32 s21, -1, 0
	s_cmp_eq_u32 s17, s7
	s_cselect_b32 s17, s21, s24
	s_delay_alu instid0(SALU_CYCLE_1) | instskip(SKIP_4) | instid1(SALU_CYCLE_1)
	s_cmp_lg_u32 s17, 0
	s_cselect_b32 s17, s44, s42
	s_cselect_b32 s21, s45, s43
	s_cmp_lg_u32 s4, 0
	s_sub_co_ci_u32 s4, s5, s39
	s_cmp_ge_u32 s4, s7
	s_cselect_b32 s5, -1, 0
	s_cmp_ge_u32 s1, s6
	s_cselect_b32 s1, -1, 0
	s_cmp_eq_u32 s4, s7
	s_cselect_b32 s1, s1, s5
	s_delay_alu instid0(SALU_CYCLE_1) | instskip(SKIP_3) | instid1(SALU_CYCLE_1)
	s_cmp_lg_u32 s1, 0
	s_cselect_b32 s5, s21, s41
	s_cselect_b32 s4, s17, s40
	s_xor_b64 s[2:3], s[2:3], 0
	s_xor_b64 s[4:5], s[4:5], s[2:3]
	s_delay_alu instid0(SALU_CYCLE_1)
	s_sub_nc_u64 s[40:41], s[4:5], s[2:3]
	s_mov_b32 s2, 0
.LBB3_11:                               ;   in Loop: Header=BB3_9 Depth=1
	s_delay_alu instid0(SALU_CYCLE_1)
	s_and_not1_b32 vcc_lo, exec_lo, s2
	s_cbranch_vccnz .LBB3_13
; %bb.12:                               ;   in Loop: Header=BB3_9 Depth=1
	v_readfirstlane_b32 s1, v7
	s_sub_co_i32 s2, 0, s16
	s_delay_alu instid0(SALU_CYCLE_1) | instskip(NEXT) | instid1(SALU_CYCLE_1)
	s_mul_i32 s2, s2, s1
	s_mul_hi_u32 s2, s1, s2
	s_delay_alu instid0(SALU_CYCLE_1) | instskip(NEXT) | instid1(SALU_CYCLE_1)
	s_add_co_i32 s1, s1, s2
	s_mul_hi_u32 s1, s0, s1
	s_delay_alu instid0(SALU_CYCLE_1) | instskip(NEXT) | instid1(SALU_CYCLE_1)
	s_mul_i32 s2, s1, s16
	s_sub_co_i32 s0, s0, s2
	s_add_co_i32 s2, s1, 1
	s_sub_co_i32 s3, s0, s16
	s_cmp_ge_u32 s0, s16
	s_cselect_b32 s1, s2, s1
	s_cselect_b32 s0, s3, s0
	s_add_co_i32 s2, s1, 1
	s_cmp_ge_u32 s0, s16
	s_cselect_b32 s24, s2, s1
	s_delay_alu instid0(SALU_CYCLE_1)
	s_mov_b64 s[40:41], s[24:25]
.LBB3_13:                               ;   in Loop: Header=BB3_9 Depth=1
	s_delay_alu instid0(SALU_CYCLE_1)
	s_cmp_lg_u32 s20, s40
	s_mov_b32 s0, -1
                                        ; implicit-def: $vgpr4_vgpr5
                                        ; implicit-def: $sgpr24
                                        ; implicit-def: $sgpr17
                                        ; implicit-def: $sgpr21
                                        ; implicit-def: $sgpr29
	s_cbranch_scc0 .LBB3_18
; %bb.14:                               ;   in Loop: Header=BB3_9 Depth=1
	s_add_co_i32 s0, s36, s16
	v_max_num_f32_e64 v4, s28, s28
	s_lshl_b32 s0, s0, 5
	s_mov_b32 s29, s20
	s_add_co_i32 s0, s0, s15
	s_load_b64 s[38:39], s[10:11], s0 offset:0x0 scale_offset
	s_wait_xcnt 0x0
	v_readfirstlane_b32 s0, v4
	s_wait_kmcnt 0x0
	v_max_num_f32_e64 v5, s38, s38
	s_delay_alu instid0(VALU_DEP_1) | instskip(SKIP_1) | instid1(SALU_CYCLE_3)
	v_readfirstlane_b32 s1, v5
	s_max_num_f32 s17, s0, s1
	s_sub_f32 s33, s28, s17
	s_sub_f32 s37, s38, s17
	s_delay_alu instid0(SALU_CYCLE_2)
	s_cmp_nlt_f32 s33, 0xc2ce8ed0
	s_cselect_b32 s1, -1, 0
	s_cmp_ngt_f32 s33, 0x42b17218
	s_cselect_b32 s2, -1, 0
	s_cmp_ge_f32 s33, 0xc1a00000
	s_cselect_b32 s0, -1, 0
	s_cmp_nlt_f32 s37, 0xc2ce8ed0
	s_cselect_b32 s3, -1, 0
	s_cmp_ngt_f32 s37, 0x42b17218
	s_cselect_b32 s4, -1, 0
	s_cmp_ge_f32 s37, 0xc1a00000
	s_cselect_b32 s5, -1, 0
	s_and_b64 s[42:43], s[40:41], s[8:9]
	s_delay_alu instid0(SALU_CYCLE_1) | instskip(NEXT) | instid1(SALU_CYCLE_1)
	s_mul_u64 s[42:43], s[42:43], s[22:23]
	s_add_co_i32 s21, s43, s40
	s_delay_alu instid0(SALU_CYCLE_1) | instskip(NEXT) | instid1(SALU_CYCLE_1)
	s_lshr_b32 s21, s21, s13
	s_mul_i32 s24, s21, s14
	s_delay_alu instid0(SALU_CYCLE_1) | instskip(SKIP_3) | instid1(SALU_CYCLE_1)
	s_cmp_eq_u32 s24, s40
	s_cselect_b32 s24, -1, 0
	s_cmp_lt_u32 s21, s12
	s_cselect_b32 s21, -1, 0
	s_or_b32 s21, s21, s24
	s_mov_b32 s24, -1
	s_and_b32 vcc_lo, exec_lo, s21
	s_mov_b32 s21, s36
	s_cbranch_vccnz .LBB3_16
; %bb.15:                               ;   in Loop: Header=BB3_9 Depth=1
	s_add_co_i32 s21, s36, -1
	s_mov_b32 s24, 0
	s_mov_b32 s29, s40
.LBB3_16:                               ;   in Loop: Header=BB3_9 Depth=1
	v_lshl_add_u32 v4, s36, 12, v6
	s_mul_f32 s40, s33, 0x3fb8aa3b
	s_mul_f32 s38, s37, 0x3fb8aa3b
	s_delay_alu instid0(SALU_CYCLE_2)
	s_xor_b32 s42, s40, 0x80000000
	global_load_b32 v5, v4, s[26:27] scale_offset
	s_fmamk_f32 s42, s33, 0x3fb8aa3b, s42
	s_rndne_f32 s44, s40
	s_xor_b32 s41, s38, 0x80000000
	s_rndne_f32 s43, s38
	s_fmamk_f32 s33, s33, 0x32a5705f, s42
	s_sub_f32 s40, s40, s44
	s_fmamk_f32 s41, s37, 0x3fb8aa3b, s41
	s_sub_f32 s38, s38, s43
	s_delay_alu instid0(SALU_CYCLE_1) | instskip(NEXT) | instid1(SALU_CYCLE_1)
	s_add_f32 s33, s40, s33
	s_fmamk_f32 s37, s37, 0x32a5705f, s41
	s_cvt_i32_f32 s40, s44
	s_delay_alu instid0(SALU_CYCLE_1) | instskip(NEXT) | instid1(SALU_CYCLE_1)
	v_s_exp_f32 s33, s33
	s_add_f32 s37, s38, s37
	s_cvt_i32_f32 s38, s43
	s_delay_alu instid0(SALU_CYCLE_2) | instskip(NEXT) | instid1(TRANS32_DEP_2)
	v_s_exp_f32 s37, s37
	v_ldexp_f32 v8, s33, s40
	s_wait_xcnt 0x0
	s_delay_alu instid0(TRANS32_DEP_1) | instskip(NEXT) | instid1(VALU_DEP_2)
	v_ldexp_f32 v4, s37, s38
	v_cndmask_b32_e64 v8, 0, v8, s1
	s_delay_alu instid0(VALU_DEP_1) | instskip(NEXT) | instid1(VALU_DEP_1)
	v_cndmask_b32_e64 v9, 0x7f800000, v8, s2
	v_dual_cndmask_b32 v4, 0, v4, s3 :: v_dual_cndmask_b32 v10, 0, v9, s0
	s_delay_alu instid0(VALU_DEP_1) | instskip(NEXT) | instid1(VALU_DEP_1)
	v_cndmask_b32_e64 v4, 0x7f800000, v4, s4
	v_dual_cndmask_b32 v8, 0, v4, s5 :: v_dual_mov_b32 v4, s39
	s_wait_loadcnt 0x0
	s_delay_alu instid0(VALU_DEP_1) | instskip(NEXT) | instid1(VALU_DEP_1)
	v_pk_mul_f32 v[4:5], v[4:5], v[8:9] op_sel_hi:[1,0]
	v_pk_fma_f32 v[4:5], v[0:1], v[10:11], v[4:5] op_sel_hi:[1,0,1]
	s_cbranch_execz .LBB3_19
.LBB3_17:                               ;   in Loop: Header=BB3_9 Depth=1
	s_and_not1_b32 vcc_lo, exec_lo, s24
	s_cbranch_vccnz .LBB3_20
	s_branch .LBB3_23
.LBB3_18:                               ;   in Loop: Header=BB3_9 Depth=1
	s_and_not1_b32 vcc_lo, exec_lo, s0
	s_cbranch_vccnz .LBB3_17
.LBB3_19:                               ;   in Loop: Header=BB3_9 Depth=1
	s_wait_loadcnt 0x0
	v_mov_b64_e32 v[4:5], v[0:1]
	s_add_co_i32 s21, s36, -1
	s_mov_b32 s29, s20
	s_mov_b32 s17, s28
	s_cbranch_execz .LBB3_23
.LBB3_20:                               ;   in Loop: Header=BB3_9 Depth=1
	s_wait_loadcnt 0x0
	s_delay_alu instid0(VALU_DEP_1)
	v_mov_b64_e32 v[0:1], v[4:5]
	s_mov_b32 s20, s29
	s_mov_b32 s36, s21
	;; [unrolled: 1-line block ×3, first 2 shown]
	s_branch .LBB3_9
.LBB3_21:
                                        ; implicit-def: $sgpr20_sgpr21
	s_branch .LBB3_2
.LBB3_22:
                                        ; implicit-def: $sgpr24_sgpr25
	s_load_b96 s[12:14], s[0:1], 0x44
	s_branch .LBB3_5
.LBB3_23:
	s_delay_alu instid0(VALU_DEP_1) | instskip(SKIP_1) | instid1(VALU_DEP_1)
	v_div_scale_f32 v0, null, v4, v4, v5
	s_wait_loadcnt 0x0
	v_rcp_f32_e32 v1, v0
	v_nop
	s_delay_alu instid0(TRANS32_DEP_1) | instskip(NEXT) | instid1(VALU_DEP_1)
	v_fma_f32 v6, -v0, v1, 1.0
	v_fmac_f32_e32 v1, v6, v1
	v_div_scale_f32 v6, vcc_lo, v5, v4, v5
	s_delay_alu instid0(VALU_DEP_1) | instskip(NEXT) | instid1(VALU_DEP_1)
	v_mul_f32_e32 v7, v6, v1
	v_fma_f32 v8, -v0, v7, v6
	s_delay_alu instid0(VALU_DEP_1) | instskip(NEXT) | instid1(VALU_DEP_1)
	v_fmac_f32_e32 v7, v8, v1
	v_fma_f32 v0, -v0, v7, v6
	s_delay_alu instid0(VALU_DEP_1) | instskip(NEXT) | instid1(VALU_DEP_1)
	v_div_fmas_f32 v0, v0, v1, v7
	v_div_fixup_f32 v0, v0, v4, v5
	global_store_b32 v[2:3], v0, off
.LBB3_24:
	s_endpgm
	.section	.rodata,"a",@progbits
	.p2align	6, 0x0
	.amdhsa_kernel _ZL33flash_attn_stream_k_fixup_generalILi128ELi2ELi16EEvPfPK15HIP_vector_typeIfLj2EEiiiiS1_IjLj3EES5_S5_S5_
		.amdhsa_group_segment_fixed_size 0
		.amdhsa_private_segment_fixed_size 0
		.amdhsa_kernarg_size 336
		.amdhsa_user_sgpr_count 2
		.amdhsa_user_sgpr_dispatch_ptr 0
		.amdhsa_user_sgpr_queue_ptr 0
		.amdhsa_user_sgpr_kernarg_segment_ptr 1
		.amdhsa_user_sgpr_dispatch_id 0
		.amdhsa_user_sgpr_kernarg_preload_length 0
		.amdhsa_user_sgpr_kernarg_preload_offset 0
		.amdhsa_user_sgpr_private_segment_size 0
		.amdhsa_wavefront_size32 1
		.amdhsa_uses_dynamic_stack 0
		.amdhsa_enable_private_segment 0
		.amdhsa_system_sgpr_workgroup_id_x 1
		.amdhsa_system_sgpr_workgroup_id_y 1
		.amdhsa_system_sgpr_workgroup_id_z 1
		.amdhsa_system_sgpr_workgroup_info 0
		.amdhsa_system_vgpr_workitem_id 0
		.amdhsa_next_free_vgpr 12
		.amdhsa_next_free_sgpr 46
		.amdhsa_named_barrier_count 0
		.amdhsa_reserve_vcc 1
		.amdhsa_float_round_mode_32 0
		.amdhsa_float_round_mode_16_64 0
		.amdhsa_float_denorm_mode_32 3
		.amdhsa_float_denorm_mode_16_64 3
		.amdhsa_fp16_overflow 0
		.amdhsa_memory_ordered 1
		.amdhsa_forward_progress 1
		.amdhsa_inst_pref_size 27
		.amdhsa_round_robin_scheduling 0
		.amdhsa_exception_fp_ieee_invalid_op 0
		.amdhsa_exception_fp_denorm_src 0
		.amdhsa_exception_fp_ieee_div_zero 0
		.amdhsa_exception_fp_ieee_overflow 0
		.amdhsa_exception_fp_ieee_underflow 0
		.amdhsa_exception_fp_ieee_inexact 0
		.amdhsa_exception_int_div_zero 0
	.end_amdhsa_kernel
	.section	.text._ZL33flash_attn_stream_k_fixup_generalILi128ELi2ELi16EEvPfPK15HIP_vector_typeIfLj2EEiiiiS1_IjLj3EES5_S5_S5_,"axG",@progbits,_ZL33flash_attn_stream_k_fixup_generalILi128ELi2ELi16EEvPfPK15HIP_vector_typeIfLj2EEiiiiS1_IjLj3EES5_S5_S5_,comdat
.Lfunc_end3:
	.size	_ZL33flash_attn_stream_k_fixup_generalILi128ELi2ELi16EEvPfPK15HIP_vector_typeIfLj2EEiiiiS1_IjLj3EES5_S5_S5_, .Lfunc_end3-_ZL33flash_attn_stream_k_fixup_generalILi128ELi2ELi16EEvPfPK15HIP_vector_typeIfLj2EEiiiiS1_IjLj3EES5_S5_S5_
                                        ; -- End function
	.set _ZL33flash_attn_stream_k_fixup_generalILi128ELi2ELi16EEvPfPK15HIP_vector_typeIfLj2EEiiiiS1_IjLj3EES5_S5_S5_.num_vgpr, 12
	.set _ZL33flash_attn_stream_k_fixup_generalILi128ELi2ELi16EEvPfPK15HIP_vector_typeIfLj2EEiiiiS1_IjLj3EES5_S5_S5_.num_agpr, 0
	.set _ZL33flash_attn_stream_k_fixup_generalILi128ELi2ELi16EEvPfPK15HIP_vector_typeIfLj2EEiiiiS1_IjLj3EES5_S5_S5_.numbered_sgpr, 46
	.set _ZL33flash_attn_stream_k_fixup_generalILi128ELi2ELi16EEvPfPK15HIP_vector_typeIfLj2EEiiiiS1_IjLj3EES5_S5_S5_.num_named_barrier, 0
	.set _ZL33flash_attn_stream_k_fixup_generalILi128ELi2ELi16EEvPfPK15HIP_vector_typeIfLj2EEiiiiS1_IjLj3EES5_S5_S5_.private_seg_size, 0
	.set _ZL33flash_attn_stream_k_fixup_generalILi128ELi2ELi16EEvPfPK15HIP_vector_typeIfLj2EEiiiiS1_IjLj3EES5_S5_S5_.uses_vcc, 1
	.set _ZL33flash_attn_stream_k_fixup_generalILi128ELi2ELi16EEvPfPK15HIP_vector_typeIfLj2EEiiiiS1_IjLj3EES5_S5_S5_.uses_flat_scratch, 0
	.set _ZL33flash_attn_stream_k_fixup_generalILi128ELi2ELi16EEvPfPK15HIP_vector_typeIfLj2EEiiiiS1_IjLj3EES5_S5_S5_.has_dyn_sized_stack, 0
	.set _ZL33flash_attn_stream_k_fixup_generalILi128ELi2ELi16EEvPfPK15HIP_vector_typeIfLj2EEiiiiS1_IjLj3EES5_S5_S5_.has_recursion, 0
	.set _ZL33flash_attn_stream_k_fixup_generalILi128ELi2ELi16EEvPfPK15HIP_vector_typeIfLj2EEiiiiS1_IjLj3EES5_S5_S5_.has_indirect_call, 0
	.section	.AMDGPU.csdata,"",@progbits
; Kernel info:
; codeLenInByte = 3360
; TotalNumSgprs: 48
; NumVgprs: 12
; ScratchSize: 0
; MemoryBound: 0
; FloatMode: 240
; IeeeMode: 1
; LDSByteSize: 0 bytes/workgroup (compile time only)
; SGPRBlocks: 0
; VGPRBlocks: 0
; NumSGPRsForWavesPerEU: 48
; NumVGPRsForWavesPerEU: 12
; NamedBarCnt: 0
; Occupancy: 16
; WaveLimiterHint : 0
; COMPUTE_PGM_RSRC2:SCRATCH_EN: 0
; COMPUTE_PGM_RSRC2:USER_SGPR: 2
; COMPUTE_PGM_RSRC2:TRAP_HANDLER: 0
; COMPUTE_PGM_RSRC2:TGID_X_EN: 1
; COMPUTE_PGM_RSRC2:TGID_Y_EN: 1
; COMPUTE_PGM_RSRC2:TGID_Z_EN: 1
; COMPUTE_PGM_RSRC2:TIDIG_COMP_CNT: 0
	.section	.text._ZL26flash_attn_combine_resultsILi128EEvPKfPK15HIP_vector_typeIfLj2EEPfi,"axG",@progbits,_ZL26flash_attn_combine_resultsILi128EEvPKfPK15HIP_vector_typeIfLj2EEPfi,comdat
	.globl	_ZL26flash_attn_combine_resultsILi128EEvPKfPK15HIP_vector_typeIfLj2EEPfi ; -- Begin function _ZL26flash_attn_combine_resultsILi128EEvPKfPK15HIP_vector_typeIfLj2EEPfi
	.p2align	8
	.type	_ZL26flash_attn_combine_resultsILi128EEvPKfPK15HIP_vector_typeIfLj2EEPfi,@function
_ZL26flash_attn_combine_resultsILi128EEvPKfPK15HIP_vector_typeIfLj2EEPfi: ; @_ZL26flash_attn_combine_resultsILi128EEvPKfPK15HIP_vector_typeIfLj2EEPfi
; %bb.0:
	s_clause 0x2
	s_load_b128 s[4:7], s[0:1], 0x0
	s_load_b96 s[8:10], s[0:1], 0x10
	s_load_b64 s[2:3], s[0:1], 0x20
	s_bfe_u32 s11, ttmp6, 0x4000c
	s_wait_xcnt 0x0
	s_and_b32 s0, ttmp6, 15
	s_add_co_i32 s11, s11, 1
	s_and_b32 s12, ttmp7, 0xffff
	s_mul_i32 s1, ttmp9, s11
	s_bfe_u32 s11, ttmp6, 0x40010
	s_bfe_u32 s13, ttmp6, 0x40014
	s_add_co_i32 s11, s11, 1
	s_add_co_i32 s0, s0, s1
	s_mul_i32 s1, s12, s11
	s_bfe_u32 s11, ttmp6, 0x40004
	s_lshr_b32 s14, ttmp7, 16
	s_add_co_i32 s13, s13, 1
	s_add_co_i32 s11, s11, s1
	s_mul_i32 s1, s14, s13
	s_bfe_u32 s13, ttmp6, 0x40008
	s_getreg_b32 s15, hwreg(HW_REG_IB_STS2, 6, 4)
	s_add_co_i32 s13, s13, s1
	s_cmp_eq_u32 s15, 0
	v_mov_b32_e32 v2, v0
	s_cselect_b32 s1, s14, s13
	s_cselect_b32 s0, ttmp9, s0
	s_wait_kmcnt 0x0
	s_mul_i32 s1, s2, s1
	s_cselect_b32 s2, s12, s11
	s_add_co_i32 s0, s1, s0
	s_lshl_b32 s12, s10, 1
	s_mul_i32 s11, s0, s3
	s_mov_b32 s13, exec_lo
	s_add_co_i32 s11, s11, s2
	s_delay_alu instid0(SALU_CYCLE_1)
	s_mul_i32 s2, s11, s10
	v_cmpx_gt_i32_e64 s12, v0
	s_cbranch_execz .LBB4_13
; %bb.1:
	v_xad_u32 v1, v0, -1, s12
	s_ashr_i32 s3, s2, 31
	s_mov_b32 s0, -1
	s_mov_b32 s14, exec_lo
	s_delay_alu instid0(VALU_DEP_1)
	v_cmpx_lt_u32_e32 0x7f, v1
	s_cbranch_execz .LBB4_10
; %bb.2:
	v_lshrrev_b32_e32 v6, 7, v1
	v_or_b32_e32 v1, 0x80, v0
	s_lshl_b64 s[0:1], s[2:3], 3
	v_mov_b32_e32 v4, 0
	s_add_nc_u64 s[0:1], s[6:7], s[0:1]
	v_add_nc_u32_e32 v2, -1, v6
	s_delay_alu instid0(VALU_DEP_1) | instskip(SKIP_1) | instid1(VALU_DEP_2)
	v_lshrrev_b32_e32 v3, 1, v2
	v_cmp_lt_u32_e32 vcc_lo, 13, v2
	v_add_nc_u32_e32 v7, 1, v3
	v_mov_b64_e32 v[2:3], v[0:1]
	s_and_saveexec_b32 s15, vcc_lo
	s_cbranch_execz .LBB4_6
; %bb.3:
	v_mov_b64_e32 v[2:3], v[0:1]
	v_dual_mov_b32 v5, 0 :: v_dual_bitop2_b32 v8, -8, v7 bitop3:0x40
	v_lshl_add_u32 v9, v0, 2, 0
	s_mov_b32 s16, 0
	s_mov_b32 s17, 0
.LBB4_4:                                ; =>This Inner Loop Header: Depth=1
	s_delay_alu instid0(VALU_DEP_2) | instskip(NEXT) | instid1(VALU_DEP_4)
	v_dual_mov_b32 v4, v2 :: v_dual_mov_b32 v11, v5
	v_dual_mov_b32 v13, v5 :: v_dual_add_nc_u32 v10, 0x100, v3
	v_dual_mov_b32 v15, v5 :: v_dual_add_nc_u32 v12, 0x200, v3
	s_delay_alu instid0(VALU_DEP_3) | instskip(SKIP_1) | instid1(VALU_DEP_4)
	v_lshl_add_u64 v[24:25], v[4:5], 2, s[0:1]
	v_dual_mov_b32 v4, v3 :: v_dual_add_nc_u32 v8, -8, v8
	v_lshl_add_u64 v[10:11], v[10:11], 2, s[0:1]
	v_dual_mov_b32 v17, v5 :: v_dual_add_nc_u32 v14, 0x300, v3
	s_delay_alu instid0(VALU_DEP_3)
	v_lshl_add_u64 v[26:27], v[4:5], 2, s[0:1]
	v_add_nc_u32_e32 v4, 0x100, v2
	global_load_b32 v1, v[24:25], off
	v_lshl_add_u64 v[12:13], v[12:13], 2, s[0:1]
	v_dual_mov_b32 v19, v5 :: v_dual_add_nc_u32 v16, 0x400, v3
	global_load_b32 v28, v[26:27], off
	s_wait_xcnt 0x1
	v_lshl_add_u64 v[24:25], v[4:5], 2, s[0:1]
	v_add_nc_u32_e32 v4, 0x200, v2
	s_clause 0x1
	global_load_b32 v29, v[24:25], off
	global_load_b32 v30, v[10:11], off
	s_wait_xcnt 0x2
	v_lshl_add_u64 v[26:27], v[4:5], 2, s[0:1]
	v_add_nc_u32_e32 v4, 0x300, v2
	s_clause 0x1
	global_load_b32 v24, v[26:27], off
	global_load_b32 v25, v[12:13], off
	s_wait_xcnt 0x2
	v_lshl_add_u64 v[10:11], v[4:5], 2, s[0:1]
	v_add_nc_u32_e32 v4, 0x400, v2
	v_lshl_add_u64 v[14:15], v[14:15], 2, s[0:1]
	s_clause 0x1
	global_load_b32 v26, v[10:11], off
	global_load_b32 v27, v[14:15], off
	s_wait_xcnt 0x2
	v_lshl_add_u64 v[12:13], v[4:5], 2, s[0:1]
	v_add_nc_u32_e32 v4, 0x500, v2
	v_dual_mov_b32 v21, v5 :: v_dual_add_nc_u32 v18, 0x500, v3
	v_lshl_add_u64 v[16:17], v[16:17], 2, s[0:1]
	v_dual_mov_b32 v23, v5 :: v_dual_add_nc_u32 v20, 0x600, v3
	s_wait_xcnt 0x1
	v_lshl_add_u64 v[10:11], v[4:5], 2, s[0:1]
	v_add_nc_u32_e32 v4, 0x600, v2
	s_clause 0x1
	global_load_b32 v14, v[12:13], off
	global_load_b32 v15, v[16:17], off
	v_add_nc_u32_e32 v22, 0x700, v3
	v_lshl_add_u64 v[18:19], v[18:19], 2, s[0:1]
	v_lshl_add_u64 v[20:21], v[20:21], 2, s[0:1]
	s_wait_xcnt 0x1
	v_lshl_add_u64 v[12:13], v[4:5], 2, s[0:1]
	v_add_nc_u32_e32 v4, 0x700, v2
	s_clause 0x1
	global_load_b32 v16, v[10:11], off
	global_load_b32 v17, v[18:19], off
	v_lshl_add_u64 v[22:23], v[22:23], 2, s[0:1]
	s_add_co_i32 s17, s17, 16
	v_cmp_eq_u32_e32 vcc_lo, 0, v8
	s_wait_xcnt 0x1
	v_lshl_add_u64 v[10:11], v[4:5], 2, s[0:1]
	s_clause 0x3
	global_load_b32 v18, v[12:13], off
	global_load_b32 v19, v[20:21], off
	;; [unrolled: 1-line block ×4, first 2 shown]
	v_dual_mov_b32 v4, s17 :: v_dual_add_nc_u32 v3, 0x800, v3
	v_add_nc_u32_e32 v2, 0x800, v2
	s_or_b32 s16, vcc_lo, s16
	s_wait_loadcnt 0xe
	ds_store_2addr_stride64_b32 v9, v1, v28 offset1:2
	s_wait_loadcnt 0xc
	ds_store_2addr_stride64_b32 v9, v29, v30 offset0:4 offset1:6
	s_wait_loadcnt 0xa
	ds_store_2addr_stride64_b32 v9, v24, v25 offset0:8 offset1:10
	;; [unrolled: 2-line block ×7, first 2 shown]
	v_add_nc_u32_e32 v9, 0x2000, v9
	s_wait_xcnt 0x0
	s_and_not1_b32 exec_lo, exec_lo, s16
	s_cbranch_execnz .LBB4_4
; %bb.5:
	s_or_b32 exec_lo, exec_lo, s16
.LBB4_6:
	s_delay_alu instid0(SALU_CYCLE_1) | instskip(SKIP_3) | instid1(VALU_DEP_1)
	s_or_b32 exec_lo, exec_lo, s15
	v_and_b32_e32 v1, 7, v7
	s_mov_b32 s16, 0
	s_mov_b32 s15, exec_lo
	v_cmpx_ne_u32_e32 0, v1
	s_cbranch_execz .LBB4_9
; %bb.7:
	v_lshlrev_b32_e32 v5, 2, v0
	s_delay_alu instid0(VALU_DEP_1) | instskip(NEXT) | instid1(VALU_DEP_1)
	v_lshl_or_b32 v4, v4, 9, v5
	v_dual_mov_b32 v5, 0 :: v_dual_add_nc_u32 v7, 0, v4
.LBB4_8:                                ; =>This Inner Loop Header: Depth=1
	v_dual_mov_b32 v4, v2 :: v_dual_add_nc_u32 v1, -1, v1
	v_add_nc_u32_e32 v2, 0x100, v2
	s_delay_alu instid0(VALU_DEP_2) | instskip(SKIP_1) | instid1(VALU_DEP_4)
	v_lshl_add_u64 v[8:9], v[4:5], 2, s[0:1]
	v_dual_mov_b32 v4, v3 :: v_dual_add_nc_u32 v3, 0x100, v3
	v_cmp_eq_u32_e32 vcc_lo, 0, v1
	s_delay_alu instid0(VALU_DEP_2)
	v_lshl_add_u64 v[10:11], v[4:5], 2, s[0:1]
	s_clause 0x1
	global_load_b32 v4, v[8:9], off
	global_load_b32 v12, v[10:11], off
	s_or_b32 s16, vcc_lo, s16
	s_wait_loadcnt 0x0
	ds_store_2addr_stride64_b32 v7, v4, v12 offset1:2
	v_add_nc_u32_e32 v7, 0x400, v7
	s_and_not1_b32 exec_lo, exec_lo, s16
	s_cbranch_execnz .LBB4_8
.LBB4_9:
	s_or_b32 exec_lo, exec_lo, s15
	v_add_nc_u32_e32 v1, 1, v6
	s_delay_alu instid0(VALU_DEP_1) | instskip(NEXT) | instid1(VALU_DEP_1)
	v_and_b32_e32 v2, 0x3fffffe, v1
	v_cmp_ne_u32_e32 vcc_lo, v1, v2
	v_lshl_or_b32 v2, v2, 7, v0
	s_or_not1_b32 s0, vcc_lo, exec_lo
.LBB4_10:
	s_or_b32 exec_lo, exec_lo, s14
	s_delay_alu instid0(SALU_CYCLE_1)
	s_and_b32 exec_lo, exec_lo, s0
	s_cbranch_execz .LBB4_13
; %bb.11:
	v_mov_b32_e32 v3, 0
	s_lshl_b64 s[0:1], s[2:3], 3
	v_lshl_add_u32 v1, v2, 2, 0
	s_add_nc_u64 s[0:1], s[6:7], s[0:1]
	s_delay_alu instid0(VALU_DEP_2) | instid1(SALU_CYCLE_1)
	v_lshl_add_u64 v[4:5], v[2:3], 2, s[0:1]
	s_mov_b32 s0, 0
.LBB4_12:                               ; =>This Inner Loop Header: Depth=1
	global_load_b32 v3, v[4:5], off
	v_add_nc_u32_e32 v2, 0x80, v2
	s_wait_xcnt 0x0
	v_add_nc_u64_e32 v[4:5], 0x200, v[4:5]
	s_delay_alu instid0(VALU_DEP_2)
	v_cmp_le_i32_e32 vcc_lo, s12, v2
	s_or_b32 s0, vcc_lo, s0
	s_wait_loadcnt 0x0
	ds_store_b32 v1, v3
	v_add_nc_u32_e32 v1, 0x200, v1
	s_and_not1_b32 exec_lo, exec_lo, s0
	s_cbranch_execnz .LBB4_12
.LBB4_13:
	s_or_b32 exec_lo, exec_lo, s13
	v_mov_b32_e32 v1, 0
	s_wait_dscnt 0x0
	s_barrier_signal -1
	s_barrier_wait -1
	ds_load_b32 v1, v1
	s_cmp_lt_i32 s10, 2
	s_wait_dscnt 0x0
	v_readfirstlane_b32 s3, v1
	s_cbranch_scc1 .LBB4_21
; %bb.14:
	s_cmp_eq_u32 s10, 2
	s_cbranch_scc1 .LBB4_18
; %bb.15:
	v_dual_mov_b32 v3, s3 :: v_dual_mov_b32 v4, s3
	s_add_co_i32 s1, s10, -1
	s_add_co_i32 s7, 0, 8
	s_and_b32 s3, s1, -2
	s_mov_b32 s6, 2
.LBB4_16:                               ; =>This Inner Loop Header: Depth=1
	v_dual_mov_b32 v1, s7 :: v_dual_mov_b32 v2, v3
	s_cmp_lg_u32 s3, s6
	s_cselect_b32 s12, -1, 0
	ds_load_2addr_b32 v[6:7], v1 offset1:2
	v_dual_mov_b32 v1, v4 :: v_dual_max_num_f32 v5, v2, v2
	s_delay_alu instid0(VALU_DEP_1)
	v_max_num_f32_e32 v3, v1, v1
	s_wait_dscnt 0x0
	v_cmp_u_f32_e32 vcc_lo, v7, v7
	v_max_num_f32_e32 v7, v7, v7
	v_cndmask_b32_e64 v4, 0, 1, vcc_lo
	v_cmp_u_f32_e32 vcc_lo, v6, v6
	v_max_num_f32_e32 v6, v6, v6
	s_delay_alu instid0(VALU_DEP_3) | instskip(SKIP_1) | instid1(VALU_DEP_3)
	v_readfirstlane_b32 s0, v4
	v_cndmask_b32_e64 v8, 0, 1, vcc_lo
	v_dual_max_num_f32 v4, v3, v7 :: v_dual_max_num_f32 v3, v5, v6
	s_lshl_b32 s0, s0, 1
	s_delay_alu instid0(VALU_DEP_2) | instskip(SKIP_1) | instid1(SALU_CYCLE_1)
	v_readfirstlane_b32 s13, v8
	s_or_b32 s0, s13, s0
	s_and_b32 s13, s0, 3
	s_delay_alu instid0(SALU_CYCLE_1)
	s_cmp_lg_u32 s13, 0
	s_cselect_b32 s0, -1, 0
	s_cmp_eq_u32 s13, 0
	s_cselect_b32 s13, -1, 0
	s_add_co_i32 s6, s6, 2
	s_and_b32 s12, s13, s12
	s_add_co_i32 s7, s7, 16
	s_and_b32 vcc_lo, exec_lo, s12
	s_cbranch_vccnz .LBB4_16
; %bb.17:
	v_dual_cndmask_b32 v2, v3, v2, s0 :: v_dual_cndmask_b32 v1, v4, v1, s0
	s_add_co_i32 s6, s6, -4
	s_and_b32 s7, s0, exec_lo
	s_cselect_b32 s6, s6, s1
	s_delay_alu instid0(VALU_DEP_1) | instskip(SKIP_3) | instid1(VALU_DEP_1)
	v_dual_max_num_f32 v2, v2, v2 :: v_dual_max_num_f32 v1, v1, v1
	s_or_b32 s6, s6, 1
	s_cmp_lg_u32 s1, s3
	s_cselect_b32 s1, -1, 0
	v_readfirstlane_b32 s7, v2
	v_readfirstlane_b32 s12, v1
	s_or_b32 s0, s1, s0
	s_max_num_f32 s3, s7, s12
	s_and_b32 vcc_lo, exec_lo, s0
	s_cbranch_vccnz .LBB4_19
	s_branch .LBB4_21
.LBB4_18:
	s_mov_b32 s6, 1
	s_cbranch_execz .LBB4_21
.LBB4_19:
	s_lshl_b32 s1, s6, 3
	s_sub_co_i32 s0, s10, s6
	s_add_co_i32 s1, s1, 0
.LBB4_20:                               ; =>This Inner Loop Header: Depth=1
	s_delay_alu instid0(SALU_CYCLE_1) | instskip(NEXT) | instid1(SALU_CYCLE_1)
	v_mov_b32_e32 v1, s1
	v_max_num_f32_e64 v2, s3, s3
	s_add_co_i32 s0, s0, -1
	s_add_co_i32 s1, s1, 8
	s_cmp_eq_u32 s0, 0
	ds_load_b32 v1, v1
	v_readfirstlane_b32 s3, v2
	s_wait_dscnt 0x0
	v_max_num_f32_e32 v1, v1, v1
	s_delay_alu instid0(VALU_DEP_1)
	v_readfirstlane_b32 s6, v1
	s_max_num_f32 s3, s3, s6
	s_cbranch_scc0 .LBB4_20
.LBB4_21:
	s_cmp_lt_i32 s10, 1
	s_cbranch_scc1 .LBB4_26
; %bb.22:
	s_lshl_b32 s0, s2, 7
	s_delay_alu instid0(SALU_CYCLE_1) | instskip(NEXT) | instid1(SALU_CYCLE_1)
	s_ashr_i32 s1, s0, 31
	s_lshl_b64 s[0:1], s[0:1], 2
	s_cmp_lt_u32 s10, 8
	s_add_nc_u64 s[0:1], s[4:5], s[0:1]
	s_cbranch_scc1 .LBB4_27
; %bb.23:
	v_mov_b32_e32 v2, 0
	v_or_b32_e32 v1, 0x380, v0
	s_and_b32 s2, s10, 0x7ffffff8
	s_mov_b32 s4, 0
	s_mov_b32 s5, 0
	v_mov_b32_e32 v3, v2
.LBB4_24:                               ; =>This Inner Loop Header: Depth=1
	v_add_nc_u32_e32 v4, 0xfffffc80, v1
	v_dual_mov_b32 v16, s5 :: v_dual_add_nc_u32 v5, 0xfffffd00, v1
	s_clause 0x1
	global_load_b32 v21, v4, s[0:1] scale_offset
	global_load_b32 v23, v5, s[0:1] scale_offset
	s_wait_xcnt 0x1
	v_add_nc_u32_e32 v4, 0xfffffd80, v1
	s_wait_xcnt 0x0
	v_add_nc_u32_e32 v5, 0xfffffe00, v1
	s_clause 0x1
	global_load_b32 v25, v4, s[0:1] scale_offset
	global_load_b32 v27, v5, s[0:1] scale_offset
	s_wait_xcnt 0x1
	v_add_nc_u32_e32 v4, 0xfffffe80, v1
	s_wait_xcnt 0x0
	v_add_nc_u32_e32 v5, 0xffffff00, v1
	global_load_b32 v29, v4, s[0:1] scale_offset
	s_wait_xcnt 0x0
	v_add_nc_u32_e32 v4, 0xffffff80, v1
	s_clause 0x2
	global_load_b32 v31, v5, s[0:1] scale_offset
	global_load_b32 v33, v4, s[0:1] scale_offset
	;; [unrolled: 1-line block ×3, first 2 shown]
	s_wait_xcnt 0x1
	ds_load_2addr_b64 v[4:7], v16 offset1:1
	ds_load_2addr_b64 v[8:11], v16 offset0:2 offset1:3
	ds_load_2addr_b64 v[12:15], v16 offset0:4 offset1:5
	;; [unrolled: 1-line block ×3, first 2 shown]
	s_wait_xcnt 0x0
	v_add_nc_u32_e32 v1, 0x400, v1
	s_wait_dscnt 0x3
	v_readfirstlane_b32 s6, v4
	v_readfirstlane_b32 s7, v6
	s_wait_dscnt 0x2
	v_readfirstlane_b32 s12, v8
	v_dual_mov_b32 v20, v5 :: v_dual_mov_b32 v26, v11
	s_sub_f32 s6, s6, s3
	s_sub_f32 s7, s7, s3
	;; [unrolled: 1-line block ×3, first 2 shown]
	v_readfirstlane_b32 s13, v10
	s_mul_f32 s18, s6, 0x3fb8aa3b
	s_mul_f32 s19, s7, 0x3fb8aa3b
	;; [unrolled: 1-line block ×3, first 2 shown]
	s_wait_dscnt 0x1
	v_readfirstlane_b32 s14, v12
	s_xor_b32 s26, s18, 0x80000000
	s_rndne_f32 s27, s18
	s_fmamk_f32 s26, s6, 0x3fb8aa3b, s26
	s_cmp_nlt_f32 s6, 0xc2ce8ed0
	s_rndne_f32 s28, s19
	s_sub_f32 s18, s18, s27
	s_fmamk_f32 s26, s6, 0x32a5705f, s26
	s_cvt_i32_f32 s27, s27
	s_cselect_b32 vcc_lo, -1, 0
	s_cmp_ngt_f32 s6, 0x42b17218
	s_add_f32 s18, s18, s26
	s_sub_f32 s36, s19, s28
	s_cvt_i32_f32 s28, s28
	s_rndne_f32 s29, s20
	v_s_exp_f32 s18, s18
	s_sub_f32 s13, s13, s3
	s_sub_f32 s14, s14, s3
	;; [unrolled: 1-line block ×3, first 2 shown]
	s_cvt_i32_f32 s29, s29
	s_mul_f32 s21, s13, 0x3fb8aa3b
	s_mul_f32 s22, s14, 0x3fb8aa3b
	v_readfirstlane_b32 s15, v14
	v_ldexp_f32 v4, s18, s27
	s_wait_dscnt 0x0
	v_mov_b32_e32 v32, v17
	s_rndne_f32 s30, s21
	s_rndne_f32 s31, s22
	s_sub_f32 s15, s15, s3
	v_cndmask_b32_e32 v4, 0, v4, vcc_lo
	s_cselect_b32 vcc_lo, -1, 0
	s_xor_b32 s6, s19, 0x80000000
	s_cmp_nlt_f32 s7, 0xc2ce8ed0
	s_fmamk_f32 s6, s7, 0x3fb8aa3b, s6
	v_cndmask_b32_e32 v4, 0x7f800000, v4, vcc_lo
	s_sub_f32 s38, s21, s30
	s_cselect_b32 vcc_lo, -1, 0
	s_fmamk_f32 s6, s7, 0x32a5705f, s6
	s_cmp_ngt_f32 s7, 0x42b17218
	s_cvt_i32_f32 s30, s30
	s_sub_f32 s39, s22, s31
	s_add_f32 s6, s36, s6
	s_cvt_i32_f32 s31, s31
	s_mul_f32 s23, s15, 0x3fb8aa3b
	v_readfirstlane_b32 s16, v16
	v_s_exp_f32 s6, s6
	v_readfirstlane_b32 s17, v18
	s_rndne_f32 s33, s23
	v_mov_b32_e32 v22, v7
	s_sub_f32 s16, s16, s3
	v_mov_b32_e32 v34, v19
	s_sub_f32 s40, s23, s33
	s_cvt_i32_f32 s33, s33
	v_ldexp_f32 v5, s6, s28
	s_mul_f32 s24, s16, 0x3fb8aa3b
	s_sub_f32 s17, s17, s3
	v_dual_mov_b32 v24, v9 :: v_dual_mov_b32 v28, v13
	s_delay_alu instid0(VALU_DEP_2)
	v_dual_mov_b32 v30, v15 :: v_dual_cndmask_b32 v5, 0, v5
	s_cselect_b32 vcc_lo, -1, 0
	s_xor_b32 s6, s20, 0x80000000
	s_cmp_nlt_f32 s12, 0xc2ce8ed0
	s_fmamk_f32 s6, s12, 0x3fb8aa3b, s6
	v_cndmask_b32_e32 v6, 0x7f800000, v5, vcc_lo
	s_rndne_f32 s34, s24
	s_cselect_b32 vcc_lo, -1, 0
	s_fmamk_f32 s6, s12, 0x32a5705f, s6
	s_cmp_ngt_f32 s12, 0x42b17218
	s_sub_f32 s41, s24, s34
	s_cvt_i32_f32 s34, s34
	s_add_f32 s6, s37, s6
	s_mul_f32 s25, s17, 0x3fb8aa3b
	s_delay_alu instid0(SALU_CYCLE_2) | instskip(NEXT) | instid1(SALU_CYCLE_2)
	v_s_exp_f32 s6, s6
	s_rndne_f32 s35, s25
	s_delay_alu instid0(SALU_CYCLE_3) | instskip(SKIP_2) | instid1(TRANS32_DEP_1)
	s_sub_f32 s42, s25, s35
	s_cvt_i32_f32 s35, s35
	v_nop
	v_ldexp_f32 v5, s6, s29
	s_delay_alu instid0(VALU_DEP_1)
	v_cndmask_b32_e32 v5, 0, v5, vcc_lo
	s_cselect_b32 vcc_lo, -1, 0
	s_xor_b32 s6, s21, 0x80000000
	s_cmp_nlt_f32 s13, 0xc2ce8ed0
	s_fmamk_f32 s6, s13, 0x3fb8aa3b, s6
	v_cndmask_b32_e32 v8, 0x7f800000, v5, vcc_lo
	s_cselect_b32 vcc_lo, -1, 0
	s_delay_alu instid0(SALU_CYCLE_1) | instskip(SKIP_1) | instid1(SALU_CYCLE_2)
	s_fmamk_f32 s6, s13, 0x32a5705f, s6
	s_cmp_ngt_f32 s13, 0x42b17218
	s_add_f32 s6, s38, s6
	s_delay_alu instid0(SALU_CYCLE_3) | instskip(SKIP_1) | instid1(TRANS32_DEP_1)
	v_s_exp_f32 s6, s6
	v_nop
	v_ldexp_f32 v5, s6, s30
	s_delay_alu instid0(VALU_DEP_1)
	v_cndmask_b32_e32 v5, 0, v5, vcc_lo
	s_cselect_b32 vcc_lo, -1, 0
	s_xor_b32 s6, s22, 0x80000000
	s_cmp_nlt_f32 s14, 0xc2ce8ed0
	s_fmamk_f32 s6, s14, 0x3fb8aa3b, s6
	v_cndmask_b32_e32 v10, 0x7f800000, v5, vcc_lo
	s_cselect_b32 vcc_lo, -1, 0
	s_delay_alu instid0(SALU_CYCLE_1) | instskip(SKIP_1) | instid1(SALU_CYCLE_2)
	s_fmamk_f32 s6, s14, 0x32a5705f, s6
	s_cmp_ngt_f32 s14, 0x42b17218
	s_add_f32 s6, s39, s6
	s_delay_alu instid0(SALU_CYCLE_3) | instskip(SKIP_1) | instid1(TRANS32_DEP_1)
	v_s_exp_f32 s6, s6
	v_nop
	v_ldexp_f32 v5, s6, s31
	s_delay_alu instid0(VALU_DEP_1)
	v_cndmask_b32_e32 v5, 0, v5, vcc_lo
	s_cselect_b32 vcc_lo, -1, 0
	s_xor_b32 s6, s23, 0x80000000
	s_cmp_nlt_f32 s15, 0xc2ce8ed0
	s_fmamk_f32 s6, s15, 0x3fb8aa3b, s6
	v_cndmask_b32_e32 v12, 0x7f800000, v5, vcc_lo
	s_cselect_b32 vcc_lo, -1, 0
	s_delay_alu instid0(SALU_CYCLE_1) | instskip(SKIP_1) | instid1(SALU_CYCLE_2)
	s_fmamk_f32 s6, s15, 0x32a5705f, s6
	s_cmp_ngt_f32 s15, 0x42b17218
	s_add_f32 s6, s40, s6
	s_delay_alu instid0(SALU_CYCLE_3) | instskip(SKIP_1) | instid1(TRANS32_DEP_1)
	v_s_exp_f32 s6, s6
	v_nop
	v_ldexp_f32 v5, s6, s33
	s_delay_alu instid0(VALU_DEP_1)
	v_cndmask_b32_e32 v5, 0, v5, vcc_lo
	s_cselect_b32 vcc_lo, -1, 0
	s_xor_b32 s6, s24, 0x80000000
	s_cmp_nlt_f32 s16, 0xc2ce8ed0
	s_fmamk_f32 s6, s16, 0x3fb8aa3b, s6
	v_cndmask_b32_e32 v14, 0x7f800000, v5, vcc_lo
	s_cselect_b32 vcc_lo, -1, 0
	s_delay_alu instid0(SALU_CYCLE_1) | instskip(SKIP_1) | instid1(SALU_CYCLE_2)
	s_fmamk_f32 s6, s16, 0x32a5705f, s6
	s_cmp_ngt_f32 s16, 0x42b17218
	s_add_f32 s6, s41, s6
	s_delay_alu instid0(SALU_CYCLE_3) | instskip(SKIP_1) | instid1(TRANS32_DEP_1)
	v_s_exp_f32 s6, s6
	v_nop
	v_ldexp_f32 v5, s6, s34
	s_delay_alu instid0(VALU_DEP_1) | instskip(SKIP_4) | instid1(SALU_CYCLE_3)
	v_cndmask_b32_e32 v5, 0, v5, vcc_lo
	s_cselect_b32 vcc_lo, -1, 0
	s_xor_b32 s6, s25, 0x80000000
	s_cmp_nlt_f32 s17, 0xc2ce8ed0
	s_fmamk_f32 s6, s17, 0x3fb8aa3b, s6
	s_fmamk_f32 s6, s17, 0x32a5705f, s6
	s_delay_alu instid0(SALU_CYCLE_3) | instskip(NEXT) | instid1(SALU_CYCLE_3)
	s_add_f32 s6, s42, s6
	v_s_exp_f32 s6, s6
	s_wait_loadcnt 0x7
	v_pk_fma_f32 v[2:3], v[4:5], v[20:21], v[2:3] op_sel_hi:[0,1,1]
	v_cndmask_b32_e32 v4, 0x7f800000, v5, vcc_lo
	s_delay_alu instid0(TRANS32_DEP_1)
	v_ldexp_f32 v5, s6, s35
	s_cselect_b32 vcc_lo, -1, 0
	s_cmp_ngt_f32 s17, 0x42b17218
	s_wait_loadcnt 0x6
	v_pk_fma_f32 v[2:3], v[6:7], v[22:23], v[2:3] op_sel_hi:[0,1,1]
	v_cndmask_b32_e32 v5, 0, v5, vcc_lo
	s_cselect_b32 vcc_lo, -1, 0
	s_add_co_i32 s4, s4, 8
	s_wait_loadcnt 0x5
	v_pk_fma_f32 v[2:3], v[8:9], v[24:25], v[2:3] op_sel_hi:[0,1,1]
	s_add_co_i32 s5, s5, 64
	v_cndmask_b32_e32 v6, 0x7f800000, v5, vcc_lo
	s_cmp_eq_u32 s2, s4
	s_wait_loadcnt 0x4
	v_pk_fma_f32 v[2:3], v[10:11], v[26:27], v[2:3] op_sel_hi:[0,1,1]
	s_wait_loadcnt 0x3
	s_delay_alu instid0(VALU_DEP_1) | instskip(SKIP_1) | instid1(VALU_DEP_1)
	v_pk_fma_f32 v[2:3], v[12:13], v[28:29], v[2:3] op_sel_hi:[0,1,1]
	s_wait_loadcnt 0x2
	v_pk_fma_f32 v[2:3], v[14:15], v[30:31], v[2:3] op_sel_hi:[0,1,1]
	s_wait_loadcnt 0x1
	s_delay_alu instid0(VALU_DEP_1) | instskip(SKIP_1) | instid1(VALU_DEP_1)
	v_pk_fma_f32 v[2:3], v[4:5], v[32:33], v[2:3] op_sel_hi:[0,1,1]
	s_wait_loadcnt 0x0
	v_pk_fma_f32 v[2:3], v[6:7], v[34:35], v[2:3] op_sel_hi:[0,1,1]
	s_cbranch_scc0 .LBB4_24
; %bb.25:
	s_and_b32 s4, s10, 7
	s_delay_alu instid0(SALU_CYCLE_1)
	s_cmp_eq_u32 s4, 0
	s_cbranch_scc0 .LBB4_28
	s_branch .LBB4_30
.LBB4_26:
	v_mov_b32_e32 v1, 0x7fc00000
	s_branch .LBB4_31
.LBB4_27:
	v_mov_b64_e32 v[2:3], 0
	s_mov_b32 s2, 0
	s_and_b32 s4, s10, 7
	s_delay_alu instid0(SALU_CYCLE_1)
	s_cmp_eq_u32 s4, 0
	s_cbranch_scc1 .LBB4_30
.LBB4_28:
	v_lshl_or_b32 v1, s2, 7, v0
	s_lshl_b32 s2, s2, 3
	s_delay_alu instid0(SALU_CYCLE_1)
	s_add_co_i32 s2, s2, 0
.LBB4_29:                               ; =>This Inner Loop Header: Depth=1
	global_load_b32 v5, v1, s[0:1] scale_offset
	s_wait_xcnt 0x0
	v_dual_mov_b32 v4, s2 :: v_dual_add_nc_u32 v1, 0x80, v1
	ds_load_b64 v[6:7], v4
	s_wait_dscnt 0x0
	v_readfirstlane_b32 s5, v6
	s_sub_f32 s5, s5, s3
	s_delay_alu instid0(SALU_CYCLE_3) | instskip(NEXT) | instid1(SALU_CYCLE_3)
	s_mul_f32 s6, s5, 0x3fb8aa3b
	s_xor_b32 s7, s6, 0x80000000
	s_rndne_f32 s10, s6
	s_fmamk_f32 s7, s5, 0x3fb8aa3b, s7
	s_cmp_nlt_f32 s5, 0xc2ce8ed0
	s_delay_alu instid0(SALU_CYCLE_1) | instskip(NEXT) | instid1(SALU_CYCLE_1)
	s_sub_f32 s6, s6, s10
	s_fmamk_f32 s7, s5, 0x32a5705f, s7
	s_cselect_b32 vcc_lo, -1, 0
	s_cmp_ngt_f32 s5, 0x42b17218
	s_delay_alu instid0(SALU_CYCLE_1) | instskip(SKIP_1) | instid1(SALU_CYCLE_2)
	s_add_f32 s6, s6, s7
	s_cvt_i32_f32 s7, s10
	v_s_exp_f32 s6, s6
	v_nop
	s_delay_alu instid0(TRANS32_DEP_1) | instid1(SALU_CYCLE_1)
	v_ldexp_f32 v4, s6, s7
	s_delay_alu instid0(VALU_DEP_1) | instskip(SKIP_3) | instid1(VALU_DEP_1)
	v_dual_cndmask_b32 v6, 0, v4, vcc_lo :: v_dual_mov_b32 v4, v7
	s_cselect_b32 vcc_lo, -1, 0
	s_add_co_i32 s4, s4, -1
	s_add_co_i32 s2, s2, 8
	v_cndmask_b32_e32 v6, 0x7f800000, v6, vcc_lo
	s_cmp_lg_u32 s4, 0
	s_wait_loadcnt 0x0
	s_delay_alu instid0(VALU_DEP_1)
	v_pk_fma_f32 v[2:3], v[6:7], v[4:5], v[2:3] op_sel_hi:[0,1,1]
	s_cbranch_scc1 .LBB4_29
.LBB4_30:
	s_delay_alu instid0(VALU_DEP_1) | instskip(NEXT) | instid1(VALU_DEP_1)
	v_div_scale_f32 v1, null, v2, v2, v3
	v_rcp_f32_e32 v4, v1
	v_nop
	s_delay_alu instid0(TRANS32_DEP_1) | instskip(NEXT) | instid1(VALU_DEP_1)
	v_fma_f32 v5, -v1, v4, 1.0
	v_fmac_f32_e32 v4, v5, v4
	v_div_scale_f32 v5, vcc_lo, v3, v2, v3
	s_delay_alu instid0(VALU_DEP_1) | instskip(NEXT) | instid1(VALU_DEP_1)
	v_mul_f32_e32 v6, v5, v4
	v_fma_f32 v7, -v1, v6, v5
	s_delay_alu instid0(VALU_DEP_1) | instskip(NEXT) | instid1(VALU_DEP_1)
	v_fmac_f32_e32 v6, v7, v4
	v_fma_f32 v1, -v1, v6, v5
	s_delay_alu instid0(VALU_DEP_1) | instskip(NEXT) | instid1(VALU_DEP_1)
	v_div_fmas_f32 v1, v1, v4, v6
	v_div_fixup_f32 v1, v1, v2, v3
.LBB4_31:
	s_lshl_b32 s0, s11, 7
	s_delay_alu instid0(SALU_CYCLE_1) | instskip(NEXT) | instid1(SALU_CYCLE_1)
	s_ashr_i32 s1, s0, 31
	s_lshl_b64 s[0:1], s[0:1], 2
	s_delay_alu instid0(SALU_CYCLE_1)
	s_add_nc_u64 s[0:1], s[8:9], s[0:1]
	global_store_b32 v0, v1, s[0:1] scale_offset
	s_endpgm
	.section	.rodata,"a",@progbits
	.p2align	6, 0x0
	.amdhsa_kernel _ZL26flash_attn_combine_resultsILi128EEvPKfPK15HIP_vector_typeIfLj2EEPfi
		.amdhsa_group_segment_fixed_size 0
		.amdhsa_private_segment_fixed_size 0
		.amdhsa_kernarg_size 288
		.amdhsa_user_sgpr_count 2
		.amdhsa_user_sgpr_dispatch_ptr 0
		.amdhsa_user_sgpr_queue_ptr 0
		.amdhsa_user_sgpr_kernarg_segment_ptr 1
		.amdhsa_user_sgpr_dispatch_id 0
		.amdhsa_user_sgpr_kernarg_preload_length 0
		.amdhsa_user_sgpr_kernarg_preload_offset 0
		.amdhsa_user_sgpr_private_segment_size 0
		.amdhsa_wavefront_size32 1
		.amdhsa_uses_dynamic_stack 0
		.amdhsa_enable_private_segment 0
		.amdhsa_system_sgpr_workgroup_id_x 1
		.amdhsa_system_sgpr_workgroup_id_y 1
		.amdhsa_system_sgpr_workgroup_id_z 1
		.amdhsa_system_sgpr_workgroup_info 0
		.amdhsa_system_vgpr_workitem_id 0
		.amdhsa_next_free_vgpr 36
		.amdhsa_next_free_sgpr 43
		.amdhsa_named_barrier_count 0
		.amdhsa_reserve_vcc 1
		.amdhsa_float_round_mode_32 0
		.amdhsa_float_round_mode_16_64 0
		.amdhsa_float_denorm_mode_32 3
		.amdhsa_float_denorm_mode_16_64 3
		.amdhsa_fp16_overflow 0
		.amdhsa_memory_ordered 1
		.amdhsa_forward_progress 1
		.amdhsa_inst_pref_size 29
		.amdhsa_round_robin_scheduling 0
		.amdhsa_exception_fp_ieee_invalid_op 0
		.amdhsa_exception_fp_denorm_src 0
		.amdhsa_exception_fp_ieee_div_zero 0
		.amdhsa_exception_fp_ieee_overflow 0
		.amdhsa_exception_fp_ieee_underflow 0
		.amdhsa_exception_fp_ieee_inexact 0
		.amdhsa_exception_int_div_zero 0
	.end_amdhsa_kernel
	.section	.text._ZL26flash_attn_combine_resultsILi128EEvPKfPK15HIP_vector_typeIfLj2EEPfi,"axG",@progbits,_ZL26flash_attn_combine_resultsILi128EEvPKfPK15HIP_vector_typeIfLj2EEPfi,comdat
.Lfunc_end4:
	.size	_ZL26flash_attn_combine_resultsILi128EEvPKfPK15HIP_vector_typeIfLj2EEPfi, .Lfunc_end4-_ZL26flash_attn_combine_resultsILi128EEvPKfPK15HIP_vector_typeIfLj2EEPfi
                                        ; -- End function
	.set _ZL26flash_attn_combine_resultsILi128EEvPKfPK15HIP_vector_typeIfLj2EEPfi.num_vgpr, 36
	.set _ZL26flash_attn_combine_resultsILi128EEvPKfPK15HIP_vector_typeIfLj2EEPfi.num_agpr, 0
	.set _ZL26flash_attn_combine_resultsILi128EEvPKfPK15HIP_vector_typeIfLj2EEPfi.numbered_sgpr, 43
	.set _ZL26flash_attn_combine_resultsILi128EEvPKfPK15HIP_vector_typeIfLj2EEPfi.num_named_barrier, 0
	.set _ZL26flash_attn_combine_resultsILi128EEvPKfPK15HIP_vector_typeIfLj2EEPfi.private_seg_size, 0
	.set _ZL26flash_attn_combine_resultsILi128EEvPKfPK15HIP_vector_typeIfLj2EEPfi.uses_vcc, 1
	.set _ZL26flash_attn_combine_resultsILi128EEvPKfPK15HIP_vector_typeIfLj2EEPfi.uses_flat_scratch, 0
	.set _ZL26flash_attn_combine_resultsILi128EEvPKfPK15HIP_vector_typeIfLj2EEPfi.has_dyn_sized_stack, 0
	.set _ZL26flash_attn_combine_resultsILi128EEvPKfPK15HIP_vector_typeIfLj2EEPfi.has_recursion, 0
	.set _ZL26flash_attn_combine_resultsILi128EEvPKfPK15HIP_vector_typeIfLj2EEPfi.has_indirect_call, 0
	.section	.AMDGPU.csdata,"",@progbits
; Kernel info:
; codeLenInByte = 3596
; TotalNumSgprs: 45
; NumVgprs: 36
; ScratchSize: 0
; MemoryBound: 0
; FloatMode: 240
; IeeeMode: 1
; LDSByteSize: 0 bytes/workgroup (compile time only)
; SGPRBlocks: 0
; VGPRBlocks: 2
; NumSGPRsForWavesPerEU: 45
; NumVGPRsForWavesPerEU: 36
; NamedBarCnt: 0
; Occupancy: 16
; WaveLimiterHint : 0
; COMPUTE_PGM_RSRC2:SCRATCH_EN: 0
; COMPUTE_PGM_RSRC2:USER_SGPR: 2
; COMPUTE_PGM_RSRC2:TRAP_HANDLER: 0
; COMPUTE_PGM_RSRC2:TGID_X_EN: 1
; COMPUTE_PGM_RSRC2:TGID_Y_EN: 1
; COMPUTE_PGM_RSRC2:TGID_Z_EN: 1
; COMPUTE_PGM_RSRC2:TIDIG_COMP_CNT: 0
	.section	.text._ZL15flash_attn_tileILi192ELi128ELi1ELi16ELb0EEvPKcS1_S1_S1_S1_PKiPfP15HIP_vector_typeIfLj2EEffffjfiS5_IjLj3EEiiiiiiiiiiiliiliiiiil,"axG",@progbits,_ZL15flash_attn_tileILi192ELi128ELi1ELi16ELb0EEvPKcS1_S1_S1_S1_PKiPfP15HIP_vector_typeIfLj2EEffffjfiS5_IjLj3EEiiiiiiiiiiiliiliiiiil,comdat
	.globl	_ZL15flash_attn_tileILi192ELi128ELi1ELi16ELb0EEvPKcS1_S1_S1_S1_PKiPfP15HIP_vector_typeIfLj2EEffffjfiS5_IjLj3EEiiiiiiiiiiiliiliiiiil ; -- Begin function _ZL15flash_attn_tileILi192ELi128ELi1ELi16ELb0EEvPKcS1_S1_S1_S1_PKiPfP15HIP_vector_typeIfLj2EEffffjfiS5_IjLj3EEiiiiiiiiiiiliiliiiiil
	.p2align	8
	.type	_ZL15flash_attn_tileILi192ELi128ELi1ELi16ELb0EEvPKcS1_S1_S1_S1_PKiPfP15HIP_vector_typeIfLj2EEffffjfiS5_IjLj3EEiiiiiiiiiiiliiliiiiil,@function
_ZL15flash_attn_tileILi192ELi128ELi1ELi16ELb0EEvPKcS1_S1_S1_S1_PKiPfP15HIP_vector_typeIfLj2EEffffjfiS5_IjLj3EEiiiiiiiiiiiliiliiiiil: ; @_ZL15flash_attn_tileILi192ELi128ELi1ELi16ELb0EEvPKcS1_S1_S1_S1_PKiPfP15HIP_vector_typeIfLj2EEffffjfiS5_IjLj3EEiiiiiiiiiiiliiliiiiil
; %bb.0:
	s_clause 0x1
	s_load_b128 s[20:23], s[0:1], 0x5c
	s_load_b64 s[30:31], s[0:1], 0x80
	s_bfe_u32 s5, ttmp6, 0x40014
	s_lshr_b32 s4, ttmp7, 16
	s_add_co_i32 s5, s5, 1
	s_bfe_u32 s6, ttmp6, 0x40008
	s_mul_i32 s5, s4, s5
	s_getreg_b32 s24, hwreg(HW_REG_IB_STS2, 6, 4)
	s_add_co_i32 s6, s6, s5
	s_load_b64 s[36:37], s[0:1], 0xb8
	s_mov_b64 s[34:35], 0
	s_wait_kmcnt 0x0
	s_ashr_i32 s2, s23, 31
	s_delay_alu instid0(SALU_CYCLE_1) | instskip(NEXT) | instid1(SALU_CYCLE_1)
	s_lshr_b32 s2, s2, 28
	s_add_co_i32 s2, s23, s2
	s_delay_alu instid0(SALU_CYCLE_1) | instskip(NEXT) | instid1(SALU_CYCLE_1)
	s_ashr_i32 s2, s2, 4
	s_cvt_f32_u32 s3, s2
	s_sub_co_i32 s7, 0, s2
	s_delay_alu instid0(SALU_CYCLE_2) | instskip(SKIP_1) | instid1(TRANS32_DEP_1)
	v_rcp_iflag_f32_e32 v1, s3
	v_nop
	v_readfirstlane_b32 s3, v1
	s_mul_f32 s3, s3, 0x4f7ffffe
	s_delay_alu instid0(SALU_CYCLE_3) | instskip(NEXT) | instid1(SALU_CYCLE_3)
	s_cvt_u32_f32 s3, s3
	s_mul_i32 s7, s7, s3
	s_delay_alu instid0(SALU_CYCLE_1) | instskip(NEXT) | instid1(SALU_CYCLE_1)
	s_mul_hi_u32 s7, s3, s7
	s_add_co_i32 s3, s3, s7
	s_cmp_eq_u32 s24, 0
	s_cselect_b32 s4, s4, s6
	s_delay_alu instid0(SALU_CYCLE_1) | instskip(NEXT) | instid1(SALU_CYCLE_1)
	s_mul_hi_u32 s3, s4, s3
	s_mul_i32 s5, s3, s2
	s_add_co_i32 s6, s3, 1
	s_sub_co_i32 s5, s4, s5
	s_delay_alu instid0(SALU_CYCLE_1)
	s_sub_co_i32 s7, s5, s2
	s_cmp_ge_u32 s5, s2
	s_cselect_b32 s3, s6, s3
	s_cselect_b32 s5, s7, s5
	s_add_co_i32 s6, s3, 1
	s_cmp_ge_u32 s5, s2
	s_cselect_b32 s28, s6, s3
	s_abs_i32 s2, s31
	s_abs_i32 s7, s23
	s_cvt_f32_u32 s3, s2
	s_sub_co_i32 s5, 0, s2
	s_lshl_b32 s4, s4, 4
	s_mul_i32 s6, s28, s23
	v_rcp_iflag_f32_e32 v1, s3
	s_sub_co_i32 s33, s4, s6
	s_xor_b32 s4, s23, s31
	s_delay_alu instid0(SALU_CYCLE_1) | instskip(SKIP_1) | instid1(TRANS32_DEP_1)
	s_ashr_i32 s25, s4, 31
	v_nop
	v_readfirstlane_b32 s3, v1
	s_mul_f32 s3, s3, 0x4f7ffffe
	s_delay_alu instid0(SALU_CYCLE_3) | instskip(NEXT) | instid1(SALU_CYCLE_3)
	s_cvt_u32_f32 s3, s3
	s_mul_i32 s5, s5, s3
	s_delay_alu instid0(SALU_CYCLE_1) | instskip(NEXT) | instid1(SALU_CYCLE_1)
	s_mul_hi_u32 s5, s3, s5
	s_add_co_i32 s3, s3, s5
	s_delay_alu instid0(SALU_CYCLE_1) | instskip(NEXT) | instid1(SALU_CYCLE_1)
	s_mul_hi_u32 s3, s7, s3
	s_mul_i32 s5, s3, s2
	s_delay_alu instid0(SALU_CYCLE_1)
	s_sub_co_i32 s4, s7, s5
	s_add_co_i32 s5, s3, 1
	s_sub_co_i32 s6, s4, s2
	s_cmp_ge_u32 s4, s2
	s_cselect_b32 s3, s5, s3
	s_cselect_b32 s4, s6, s4
	s_add_co_i32 s5, s3, 1
	s_cmp_ge_u32 s4, s2
	s_cselect_b32 s2, s5, s3
	s_load_b512 s[4:19], s[0:1], 0x0
	s_xor_b32 s2, s2, s25
	s_mov_b32 s3, 0
	s_sub_co_i32 s29, s2, s25
	s_delay_alu instid0(SALU_CYCLE_1) | instskip(NEXT) | instid1(SALU_CYCLE_1)
	s_abs_i32 s31, s29
	s_cvt_f32_u32 s2, s31
	s_delay_alu instid0(SALU_CYCLE_3) | instskip(SKIP_1) | instid1(TRANS32_DEP_1)
	v_rcp_iflag_f32_e32 v1, s2
	v_nop
	v_readfirstlane_b32 s2, v1
	s_wait_kmcnt 0x0
	s_cmp_eq_u64 s[10:11], 0
	s_cbranch_scc1 .LBB5_2
; %bb.1:
	s_abs_i32 s25, s36
	s_abs_i32 s34, s28
	s_cvt_f32_u32 s26, s25
	s_sub_co_i32 s27, 0, s25
	s_delay_alu instid0(SALU_CYCLE_2) | instskip(SKIP_1) | instid1(TRANS32_DEP_1)
	v_rcp_iflag_f32_e32 v1, s26
	v_nop
	v_readfirstlane_b32 s26, v1
	s_mul_f32 s26, s26, 0x4f7ffffe
	s_delay_alu instid0(SALU_CYCLE_3) | instskip(NEXT) | instid1(SALU_CYCLE_3)
	s_cvt_u32_f32 s26, s26
	s_mul_i32 s27, s27, s26
	s_delay_alu instid0(SALU_CYCLE_1) | instskip(NEXT) | instid1(SALU_CYCLE_1)
	s_mul_hi_u32 s27, s26, s27
	s_add_co_i32 s26, s26, s27
	s_delay_alu instid0(SALU_CYCLE_1) | instskip(SKIP_2) | instid1(SALU_CYCLE_1)
	s_mul_hi_u32 s35, s34, s26
	s_load_b64 s[26:27], s[0:1], 0xc8
	s_mul_i32 s35, s35, s25
	s_sub_co_i32 s34, s34, s35
	s_ashr_i32 s35, s28, 31
	s_sub_co_i32 s36, s34, s25
	s_cmp_ge_u32 s34, s25
	s_cselect_b32 s34, s36, s34
	s_delay_alu instid0(SALU_CYCLE_1) | instskip(SKIP_2) | instid1(SALU_CYCLE_1)
	s_sub_co_i32 s36, s34, s25
	s_cmp_ge_u32 s34, s25
	s_cselect_b32 s25, s36, s34
	s_xor_b32 s25, s25, s35
	s_delay_alu instid0(SALU_CYCLE_1) | instskip(NEXT) | instid1(SALU_CYCLE_1)
	s_sub_co_i32 s34, s25, s35
	s_ashr_i32 s35, s34, 31
	s_wait_kmcnt 0x0
	s_mul_u64 s[26:27], s[26:27], s[34:35]
	s_delay_alu instid0(SALU_CYCLE_1)
	s_add_nc_u64 s[34:35], s[10:11], s[26:27]
.LBB5_2:
	s_bfe_u32 s10, ttmp6, 0x4000c
	v_dual_lshrrev_b32 v1, 10, v0 :: v_dual_mov_b32 v3, 0
	s_add_co_i32 s10, s10, 1
	s_and_b32 s11, ttmp6, 15
	s_mul_i32 s10, ttmp9, s10
	s_delay_alu instid0(VALU_DEP_1)
	v_bfe_u32 v1, v1, 3, 7
	s_add_co_i32 s11, s11, s10
	s_cmp_eq_u32 s24, 0
	v_bfe_u32 v10, v0, 10, 10
	s_cselect_b32 s25, ttmp9, s11
	s_load_b96 s[40:42], s[0:1], 0x70
	v_dual_mov_b32 v5, v3 :: v_dual_add_nc_u32 v18, s25, v1
	s_delay_alu instid0(VALU_DEP_2) | instskip(SKIP_1) | instid1(VALU_DEP_3)
	v_lshlrev_b32_e32 v8, 1, v10
	v_mul_u32_u24_e32 v20, 0x300, v10
	v_mul_hi_u32 v1, s20, v18
	s_delay_alu instid0(VALU_DEP_1) | instskip(SKIP_3) | instid1(VALU_DEP_1)
	v_dual_add_nc_u32 v1, v18, v1 :: v_dual_bitop2_b32 v4, 14, v8 bitop3:0x40
	s_wait_kmcnt 0x0
	s_mul_i32 s20, s33, s41
	s_ashr_i32 s11, s41, 31
	v_lshrrev_b32_e32 v1, s21, v1
	s_mov_b32 s10, s41
	s_ashr_i32 s41, s40, 31
	s_lshr_b64 s[10:11], s[10:11], 2
	s_lshr_b64 s[26:27], s[40:41], 2
	v_mul_lo_u32 v1, v1, s22
	s_ashr_i32 s21, s20, 31
	v_mul_u64_e32 v[12:13], s[10:11], v[4:5]
	v_and_b32_e32 v5, 0x3ff, v0
	s_delay_alu instid0(VALU_DEP_1) | instskip(SKIP_2) | instid1(VALU_DEP_1)
	v_lshlrev_b32_e32 v0, 4, v5
	v_cmp_gt_u32_e32 vcc_lo, 16, v5
	v_dual_mov_b32 v1, v3 :: v_dual_sub_nc_u32 v2, v18, v1
	v_mul_u64_e32 v[6:7], s[26:27], v[2:3]
	s_mul_i32 s26, s28, s42
	s_delay_alu instid0(SALU_CYCLE_1) | instskip(NEXT) | instid1(SALU_CYCLE_1)
	s_ashr_i32 s27, s26, 31
	s_add_nc_u64 s[4:5], s[4:5], s[26:27]
	s_delay_alu instid0(SALU_CYCLE_1)
	s_add_nc_u64 s[4:5], s[4:5], s[20:21]
	s_delay_alu instid0(VALU_DEP_1) | instid1(SALU_CYCLE_1)
	v_lshl_add_u64 v[6:7], v[6:7], 2, s[4:5]
	s_load_b32 s4, s[0:1], 0x40
	s_delay_alu instid0(VALU_DEP_1) | instskip(NEXT) | instid1(VALU_DEP_1)
	v_add_nc_u64_e32 v[0:1], v[6:7], v[0:1]
	v_lshl_add_u64 v[6:7], v[12:13], 2, v[0:1]
	global_load_b128 v[12:15], v[6:7], off
	s_wait_kmcnt 0x0
	s_mov_b32 s5, s4
	s_wait_loadcnt 0x0
	v_fma_mixlo_f16 v9, s4, v12, 0
	v_mov_b32_e32 v12, v15
	s_delay_alu instid0(VALU_DEP_2) | instskip(NEXT) | instid1(VALU_DEP_2)
	v_and_b32_e32 v9, 0xffff, v9
	v_pk_mul_f32 v[12:13], s[4:5], v[12:13] op_sel_hi:[0,1]
	s_delay_alu instid0(VALU_DEP_1) | instskip(SKIP_2) | instid1(VALU_DEP_3)
	v_cvt_pk_f16_f32 v11, v12, v13
	v_fma_mixlo_f16 v12, s4, v14, 0
	v_lshlrev_b32_e32 v15, 3, v5
	v_and_b32_e32 v13, 0xffff0000, v11
	s_delay_alu instid0(VALU_DEP_3) | instskip(SKIP_1) | instid1(VALU_DEP_4)
	v_and_b32_e32 v12, 0xffff, v12
	v_lshlrev_b32_e32 v11, 16, v11
	v_mad_u32_u24 v14, 0x300, v10, v15
	s_delay_alu instid0(VALU_DEP_4) | instskip(NEXT) | instid1(VALU_DEP_3)
	v_or_b32_e32 v9, v13, v9
	v_or3_b32 v13, v11, v12, 0
	s_delay_alu instid0(VALU_DEP_2)
	v_or3_b32 v12, 0, 0, v9
	ds_store_b64 v14, v[12:13]
	s_and_saveexec_b32 s20, vcc_lo
	s_cbranch_execz .LBB5_4
; %bb.3:
	global_load_b128 v[22:25], v[6:7], off offset:512
	s_wait_xcnt 0x0
	v_mov_b64_e32 v[6:7], s[4:5]
	s_wait_loadcnt 0x0
	v_fma_mixlo_f16 v9, s4, v22, 0
	v_mov_b32_e32 v22, v25
	s_delay_alu instid0(VALU_DEP_2) | instskip(NEXT) | instid1(VALU_DEP_2)
	v_and_b32_e32 v9, 0xffff, v9
	v_pk_mul_f32 v[6:7], v[6:7], v[22:23]
	s_delay_alu instid0(VALU_DEP_1) | instskip(SKIP_1) | instid1(VALU_DEP_2)
	v_cvt_pk_f16_f32 v6, v6, v7
	v_fma_mixlo_f16 v7, s4, v24, 0
	v_and_b32_e32 v11, 0xffff0000, v6
	s_delay_alu instid0(VALU_DEP_2) | instskip(NEXT) | instid1(VALU_DEP_2)
	v_and_b32_e32 v7, 0xffff, v7
	v_dual_lshlrev_b32 v6, 16, v6 :: v_dual_bitop2_b32 v9, v11, v9 bitop3:0x54
	s_delay_alu instid0(VALU_DEP_1) | instskip(NEXT) | instid1(VALU_DEP_2)
	v_or3_b32 v7, v6, v7, 0
	v_or3_b32 v6, 0, 0, v9
	v_add_nc_u32_e32 v9, v15, v20
	ds_store_b64 v9, v[6:7] offset:256
.LBB5_4:
	s_or_b32 exec_lo, exec_lo, s20
	v_bitop3_b32 v6, v8, 15, 1 bitop3:0xc8
	v_mov_b32_e32 v7, v3
	s_delay_alu instid0(VALU_DEP_1) | instskip(NEXT) | instid1(VALU_DEP_1)
	v_mul_u64_e32 v[6:7], s[10:11], v[6:7]
	v_lshl_add_u64 v[0:1], v[6:7], 2, v[0:1]
	v_mov_b64_e32 v[6:7], s[4:5]
	global_load_b128 v[22:25], v[0:1], off
	s_wait_loadcnt 0x0
	v_fma_mixlo_f16 v3, s4, v22, 0
	v_mov_b32_e32 v22, v25
	s_delay_alu instid0(VALU_DEP_2) | instskip(NEXT) | instid1(VALU_DEP_2)
	v_and_b32_e32 v9, 0xffff, v3
	v_pk_mul_f32 v[6:7], v[6:7], v[22:23]
	s_delay_alu instid0(VALU_DEP_1) | instskip(SKIP_2) | instid1(VALU_DEP_3)
	v_cvt_pk_f16_f32 v6, v6, v7
	v_fma_mixlo_f16 v7, s4, v24, 0
	v_or_b32_e32 v3, 1, v8
	v_and_b32_e32 v11, 0xffff0000, v6
	s_delay_alu instid0(VALU_DEP_3) | instskip(NEXT) | instid1(VALU_DEP_2)
	v_and_b32_e32 v7, 0xffff, v7
	v_dual_lshlrev_b32 v6, 16, v6 :: v_dual_bitop2_b32 v9, v11, v9 bitop3:0x54
	s_delay_alu instid0(VALU_DEP_4) | instskip(NEXT) | instid1(VALU_DEP_2)
	v_mad_u32_u24 v11, 0x180, v3, v15
	v_or3_b32 v7, v6, v7, 0
	s_delay_alu instid0(VALU_DEP_3)
	v_or3_b32 v6, 0, 0, v9
	ds_store_b64 v11, v[6:7]
	s_and_saveexec_b32 s10, vcc_lo
	s_cbranch_execz .LBB5_6
; %bb.5:
	global_load_b128 v[22:25], v[0:1], off offset:512
	s_wait_xcnt 0x0
	v_mov_b64_e32 v[0:1], s[4:5]
	v_mul_u32_u24_e32 v3, 0x180, v3
	s_delay_alu instid0(VALU_DEP_1) | instskip(SKIP_3) | instid1(VALU_DEP_2)
	v_add_nc_u32_e32 v3, v15, v3
	s_wait_loadcnt 0x0
	v_fma_mixlo_f16 v6, s4, v22, 0
	v_mov_b32_e32 v22, v25
	v_and_b32_e32 v6, 0xffff, v6
	s_delay_alu instid0(VALU_DEP_2) | instskip(NEXT) | instid1(VALU_DEP_1)
	v_pk_mul_f32 v[0:1], v[0:1], v[22:23]
	v_cvt_pk_f16_f32 v0, v0, v1
	v_fma_mixlo_f16 v1, s4, v24, 0
	s_delay_alu instid0(VALU_DEP_2) | instskip(NEXT) | instid1(VALU_DEP_2)
	v_and_b32_e32 v7, 0xffff0000, v0
	v_and_b32_e32 v1, 0xffff, v1
	s_delay_alu instid0(VALU_DEP_2) | instskip(NEXT) | instid1(VALU_DEP_1)
	v_dual_lshlrev_b32 v0, 16, v0 :: v_dual_bitop2_b32 v6, v7, v6 bitop3:0x54
	v_or3_b32 v1, v0, v1, 0
	s_delay_alu instid0(VALU_DEP_2)
	v_or3_b32 v0, 0, 0, v6
	ds_store_b64 v3, v[0:1] offset:256
.LBB5_6:
	s_or_b32 exec_lo, exec_lo, s10
	s_cmp_eq_u64 s[14:15], 0
	s_wait_dscnt 0x0
	s_barrier_signal -1
	s_barrier_wait -1
	s_cbranch_scc1 .LBB5_8
; %bb.7:
	s_load_b32 s4, s[0:1], 0xd0
	s_wait_kmcnt 0x0
	s_mul_i32 s4, s4, s28
	s_delay_alu instid0(SALU_CYCLE_1)
	s_add_co_i32 s4, s4, s25
	s_load_b32 s30, s[14:15], s4 offset:0x0 scale_offset
.LBB5_8:
	s_wait_xcnt 0x0
	s_bfe_u32 s4, ttmp6, 0x40010
	s_and_b32 s5, ttmp7, 0xffff
	s_add_co_i32 s4, s4, 1
	s_bfe_u32 s10, ttmp6, 0x40004
	s_mul_i32 s4, s5, s4
	v_mbcnt_lo_u32_b32 v21, -1, 0
	s_add_co_i32 s10, s10, s4
	s_cmp_eq_u32 s24, 0
	s_mov_b32 s4, 0
	s_cselect_b32 s5, s5, s10
	s_delay_alu instid0(SALU_CYCLE_1)
	s_lshl_b32 s10, s5, 5
	s_wait_kmcnt 0x0
	s_cmp_lt_i32 s10, s30
	s_cbranch_scc1 .LBB5_11
; %bb.9:
	v_mbcnt_lo_u32_b32 v0, -1, 0
	s_delay_alu instid0(VALU_DEP_1)
	v_dual_mov_b32 v12, 32 :: v_dual_bitop2_b32 v26, 16, v0 bitop3:0x14
	v_xor_b32_e32 v25, 8, v0
	v_xor_b32_e32 v24, 4, v0
	;; [unrolled: 1-line block ×3, first 2 shown]
	v_dual_lshlrev_b32 v19, 2, v5 :: v_dual_bitop2_b32 v22, 1, v0 bitop3:0x14
	s_and_not1_b32 vcc_lo, exec_lo, s4
	s_cbranch_vccz .LBB5_12
; %bb.10:
	v_dual_mov_b32 v7, 0 :: v_dual_mov_b32 v37, 0
	v_dual_mov_b32 v15, 0xfeffffff :: v_dual_mov_b32 v14, 0xfeffffff
	s_delay_alu instid0(VALU_DEP_2)
	v_dual_mov_b32 v36, 0 :: v_dual_mov_b32 v6, v7
	v_dual_mov_b32 v35, 0 :: v_dual_mov_b32 v13, 0
	s_branch .LBB5_15
.LBB5_11:
                                        ; implicit-def: $vgpr0
                                        ; implicit-def: $vgpr12
                                        ; implicit-def: $vgpr26
                                        ; implicit-def: $vgpr25
                                        ; implicit-def: $vgpr24
                                        ; implicit-def: $vgpr23
                                        ; implicit-def: $vgpr22
	v_lshlrev_b32_e32 v19, 2, v5
.LBB5_12:
	s_clause 0x1
	s_load_b64 s[20:21], s[0:1], 0x8c
	s_load_b128 s[24:27], s[0:1], 0x98
	s_mul_f32 s2, s2, 0x4f7ffffe
	s_sub_co_i32 s4, 0, s31
	s_mov_b32 s15, s3
	v_dual_lshrrev_b32 v0, 3, v5 :: v_dual_lshrrev_b32 v1, 4, v5
	s_cvt_u32_f32 s11, s2
	s_abs_i32 s2, s33
	s_ashr_i32 s36, s33, 31
	s_ashr_i32 s38, s29, 31
	s_mul_i32 s4, s4, s11
	v_lshl_add_u32 v3, v10, 2, v0
	s_mul_hi_u32 s4, s11, s4
	s_ashr_i32 s39, s37, 1
	s_add_co_i32 s14, s11, s4
	s_xor_b32 s4, s36, s38
	s_mul_u64 s[14:15], s[2:3], s[14:15]
	s_ashr_i32 s29, s28, 31
	s_mul_i32 s3, s15, s31
	s_add_co_i32 s11, s15, 1
	s_sub_co_i32 s36, s2, s3
	s_wait_kmcnt 0x0
	s_ashr_i32 s14, s26, 2
	s_ashr_i32 s20, s20, 2
	s_sub_co_i32 s26, s36, s31
	s_cmp_ge_u32 s36, s31
	s_load_b64 s[2:3], s[0:1], 0xa8
	s_cselect_b32 s11, s11, s15
	s_cselect_b32 s15, s26, s36
	v_mul_lo_u32 v0, s20, v3
	s_add_co_i32 s26, s11, 1
	s_cmp_ge_u32 s15, s31
	v_dual_add_nc_u32 v11, v1, v8 :: v_dual_bitop2_b32 v7, 28, v19 bitop3:0x40
	s_cselect_b32 s11, s26, s11
	s_mul_u64 s[24:25], s[24:25], s[28:29]
	s_xor_b32 s11, s11, s4
	s_delay_alu instid0(VALU_DEP_1)
	v_mul_lo_u32 v6, s14, v11
	s_sub_co_i32 s4, s11, s4
	s_add_nc_u64 s[6:7], s[6:7], s[24:25]
	s_mul_i32 s36, s4, s21
	v_dual_ashrrev_i32 v1, 31, v0 :: v_dual_lshlrev_b32 v12, 2, v7
	s_ashr_i32 s37, s36, 31
	v_mul_u32_u24_e32 v3, 0x90, v3
	s_add_nc_u64 s[6:7], s[6:7], s[36:37]
	v_dual_mov_b32 v13, 0 :: v_dual_bitop2_b32 v7, 60, v19 bitop3:0x40
	v_lshl_add_u64 v[0:1], v[0:1], 2, s[6:7]
	s_wait_kmcnt 0x0
	s_mul_u64 s[2:3], s[2:3], s[28:29]
	s_mul_i32 s24, s4, s27
	v_add3_u32 v27, v3, v12, 0x1800
	s_add_nc_u64 s[2:3], s[8:9], s[2:3]
	v_add_nc_u64_e32 v[8:9], v[0:1], v[12:13]
	v_dual_lshlrev_b32 v12, 2, v7 :: v_dual_ashrrev_i32 v7, 31, v6
	s_ashr_i32 s25, s24, 31
	v_mad_u32 v29, v2, s39, v5
	s_add_nc_u64 s[2:3], s[2:3], s[24:25]
	s_delay_alu instid0(VALU_DEP_2) | instskip(SKIP_4) | instid1(VALU_DEP_3)
	v_lshl_or_b32 v3, v11, 8, v12
	v_lshl_add_u64 v[0:1], v[6:7], 2, s[2:3]
	v_lshl_add_u32 v30, v10, 7, 0x2a00
	s_movk_i32 s4, 0x1800
	v_dual_mov_b32 v14, 0xfeffffff :: v_dual_mov_b32 v35, v13
	v_add_nc_u64_e32 v[10:11], v[0:1], v[12:13]
	v_mad_u32_u24 v28, 0x90, v5, s4
	v_dual_mov_b32 v12, 32 :: v_dual_add_nc_u32 v31, 0x1800, v3
	v_dual_add_nc_u32 v32, v30, v19 :: v_dual_bitop2_b32 v26, 16, v21 bitop3:0x14
	v_dual_mov_b32 v36, v13 :: v_dual_bitop2_b32 v25, 8, v21 bitop3:0x14
	v_dual_mov_b32 v37, v13 :: v_dual_bitop2_b32 v24, 4, v21 bitop3:0x14
	;; [unrolled: 1-line block ×4, first 2 shown]
	v_add_nc_u32_e32 v33, 0x1800, v15
	v_add_nc_u32_e32 v34, 0x2000, v15
	v_mov_b32_e32 v15, 0xfeffffff
	s_ashr_i32 s21, s20, 31
	s_ashr_i32 s15, s14, 31
	s_add_nc_u64 s[6:7], s[0:1], 0xd0
.LBB5_13:                               ; =>This Inner Loop Header: Depth=1
	v_cmp_gt_i32_e32 vcc_lo, 32, v26
	v_dual_mov_b32 v38, v15 :: v_dual_mov_b32 v39, v14
	v_add_nc_u32_e32 v14, s10, v29
	s_ashr_i32 s11, s10, 31
	v_cndmask_b32_e32 v16, v21, v26, vcc_lo
	v_cmp_gt_i32_e32 vcc_lo, 32, v25
	s_mul_u64 s[8:9], s[10:11], s[20:21]
	v_dual_mov_b32 v41, 0 :: v_dual_mov_b32 v42, 0
	v_lshl_add_u64 v[2:3], s[8:9], 2, v[8:9]
	v_cndmask_b32_e32 v17, v21, v25, vcc_lo
	v_cmp_gt_i32_e32 vcc_lo, 32, v24
	v_dual_max_num_f32 v15, v39, v39 :: v_dual_max_num_f32 v40, v38, v38
	s_mul_u64 s[24:25], s[10:11], s[14:15]
	s_or_b32 s2, s10, 16
	v_cndmask_b32_e32 v43, v21, v24, vcc_lo
	v_cmp_gt_i32_e32 vcc_lo, 32, v23
	v_dual_lshlrev_b32 v56, 2, v16 :: v_dual_lshlrev_b32 v57, 2, v17
	v_lshl_add_u64 v[0:1], s[24:25], 2, v[10:11]
	s_ashr_i32 s3, s2, 31
	v_cndmask_b32_e32 v44, v21, v23, vcc_lo
	v_cmp_gt_i32_e32 vcc_lo, 32, v22
	s_mul_u64 s[2:3], s[2:3], s[14:15]
	s_delay_alu instid0(SALU_CYCLE_1) | instskip(SKIP_1) | instid1(VALU_DEP_1)
	v_lshl_add_u64 v[16:17], s[2:3], 2, v[10:11]
	v_dual_cndmask_b32 v45, v21, v22, vcc_lo :: v_dual_lshlrev_b32 v43, 2, v43
	v_dual_lshlrev_b32 v58, 2, v44 :: v_dual_lshlrev_b32 v59, 2, v45
	global_load_b128 v[44:47], v[2:3], off
	s_wait_loadcnt 0x0
	ds_store_b128 v27, v[44:47]
	s_wait_dscnt 0x0
	s_barrier_signal -1
	s_barrier_wait -1
	ds_load_b128 v[44:47], v28
	ds_load_b128 v[48:51], v20
	ds_load_b128 v[52:55], v20 offset:384
	s_wait_dscnt 0x1
	;;#ASMSTART
	v_dot2_f32_f16 v41, v44, v48, v41
	;;#ASMEND
	;;#ASMSTART
	v_dot2_f32_f16 v41, v45, v49, v41
	;;#ASMEND
	;;#ASMSTART
	v_dot2_f32_f16 v41, v46, v50, v41
	;;#ASMEND
	;;#ASMSTART
	v_dot2_f32_f16 v41, v47, v51, v41
	;;#ASMEND
	s_wait_dscnt 0x0
	;;#ASMSTART
	v_dot2_f32_f16 v42, v44, v52, v42
	;;#ASMEND
	;;#ASMSTART
	v_dot2_f32_f16 v42, v45, v53, v42
	;;#ASMEND
	;;#ASMSTART
	v_dot2_f32_f16 v42, v46, v54, v42
	;;#ASMEND
	;;#ASMSTART
	v_dot2_f32_f16 v42, v47, v55, v42
	;;#ASMEND
	ds_load_b128 v[44:47], v28 offset:16
	ds_load_b128 v[48:51], v20 offset:16
	ds_load_b128 v[52:55], v20 offset:400
	s_wait_dscnt 0x1
	;;#ASMSTART
	v_dot2_f32_f16 v41, v44, v48, v41
	;;#ASMEND
	;;#ASMSTART
	v_dot2_f32_f16 v41, v45, v49, v41
	;;#ASMEND
	;;#ASMSTART
	v_dot2_f32_f16 v41, v46, v50, v41
	;;#ASMEND
	;;#ASMSTART
	v_dot2_f32_f16 v41, v47, v51, v41
	;;#ASMEND
	s_wait_dscnt 0x0
	;;#ASMSTART
	v_dot2_f32_f16 v42, v44, v52, v42
	;;#ASMEND
	;;#ASMSTART
	v_dot2_f32_f16 v42, v45, v53, v42
	;;#ASMEND
	;;#ASMSTART
	v_dot2_f32_f16 v42, v46, v54, v42
	;;#ASMEND
	;;#ASMSTART
	v_dot2_f32_f16 v42, v47, v55, v42
	;;#ASMEND
	ds_load_b128 v[44:47], v28 offset:32
	ds_load_b128 v[48:51], v20 offset:32
	;; [unrolled: 29-line block ×7, first 2 shown]
	ds_load_b128 v[52:55], v20 offset:496
	s_wait_dscnt 0x1
	;;#ASMSTART
	v_dot2_f32_f16 v41, v44, v48, v41
	;;#ASMEND
	;;#ASMSTART
	v_dot2_f32_f16 v41, v45, v49, v41
	;;#ASMEND
	;; [unrolled: 3-line block ×4, first 2 shown]
	s_wait_dscnt 0x0
	;;#ASMSTART
	v_dot2_f32_f16 v42, v44, v52, v42
	;;#ASMEND
	;;#ASMSTART
	v_dot2_f32_f16 v42, v45, v53, v42
	;;#ASMEND
	;;#ASMSTART
	v_dot2_f32_f16 v42, v46, v54, v42
	;;#ASMEND
	;;#ASMSTART
	v_dot2_f32_f16 v42, v47, v55, v42
	;;#ASMEND
	s_barrier_signal -1
	s_barrier_wait -1
	global_load_b128 v[44:47], v[2:3], off offset:128
	s_wait_loadcnt 0x0
	ds_store_b128 v27, v[44:47]
	s_wait_dscnt 0x0
	s_barrier_signal -1
	s_barrier_wait -1
	ds_load_b128 v[44:47], v28
	ds_load_b128 v[48:51], v20 offset:128
	ds_load_b128 v[52:55], v20 offset:512
	s_wait_dscnt 0x1
	;;#ASMSTART
	v_dot2_f32_f16 v41, v44, v48, v41
	;;#ASMEND
	;;#ASMSTART
	v_dot2_f32_f16 v41, v45, v49, v41
	;;#ASMEND
	;;#ASMSTART
	v_dot2_f32_f16 v41, v46, v50, v41
	;;#ASMEND
	;;#ASMSTART
	v_dot2_f32_f16 v41, v47, v51, v41
	;;#ASMEND
	s_wait_dscnt 0x0
	;;#ASMSTART
	v_dot2_f32_f16 v42, v44, v52, v42
	;;#ASMEND
	;;#ASMSTART
	v_dot2_f32_f16 v42, v45, v53, v42
	;;#ASMEND
	;;#ASMSTART
	v_dot2_f32_f16 v42, v46, v54, v42
	;;#ASMEND
	;;#ASMSTART
	v_dot2_f32_f16 v42, v47, v55, v42
	;;#ASMEND
	ds_load_b128 v[44:47], v28 offset:16
	ds_load_b128 v[48:51], v20 offset:144
	ds_load_b128 v[52:55], v20 offset:528
	s_wait_dscnt 0x1
	;;#ASMSTART
	v_dot2_f32_f16 v41, v44, v48, v41
	;;#ASMEND
	;;#ASMSTART
	v_dot2_f32_f16 v41, v45, v49, v41
	;;#ASMEND
	;;#ASMSTART
	v_dot2_f32_f16 v41, v46, v50, v41
	;;#ASMEND
	;;#ASMSTART
	v_dot2_f32_f16 v41, v47, v51, v41
	;;#ASMEND
	s_wait_dscnt 0x0
	;;#ASMSTART
	v_dot2_f32_f16 v42, v44, v52, v42
	;;#ASMEND
	;;#ASMSTART
	v_dot2_f32_f16 v42, v45, v53, v42
	;;#ASMEND
	;;#ASMSTART
	v_dot2_f32_f16 v42, v46, v54, v42
	;;#ASMEND
	;;#ASMSTART
	v_dot2_f32_f16 v42, v47, v55, v42
	;;#ASMEND
	ds_load_b128 v[44:47], v28 offset:32
	ds_load_b128 v[48:51], v20 offset:160
	ds_load_b128 v[52:55], v20 offset:544
	s_wait_dscnt 0x1
	;;#ASMSTART
	v_dot2_f32_f16 v41, v44, v48, v41
	;;#ASMEND
	;;#ASMSTART
	v_dot2_f32_f16 v41, v45, v49, v41
	;;#ASMEND
	;;#ASMSTART
	v_dot2_f32_f16 v41, v46, v50, v41
	;;#ASMEND
	;;#ASMSTART
	v_dot2_f32_f16 v41, v47, v51, v41
	;;#ASMEND
	s_wait_dscnt 0x0
	;;#ASMSTART
	v_dot2_f32_f16 v42, v44, v52, v42
	;;#ASMEND
	;;#ASMSTART
	v_dot2_f32_f16 v42, v45, v53, v42
	;;#ASMEND
	;;#ASMSTART
	v_dot2_f32_f16 v42, v46, v54, v42
	;;#ASMEND
	;;#ASMSTART
	v_dot2_f32_f16 v42, v47, v55, v42
	;;#ASMEND
	ds_load_b128 v[44:47], v28 offset:48
	ds_load_b128 v[48:51], v20 offset:176
	ds_load_b128 v[52:55], v20 offset:560
	s_wait_dscnt 0x1
	;;#ASMSTART
	v_dot2_f32_f16 v41, v44, v48, v41
	;;#ASMEND
	;;#ASMSTART
	v_dot2_f32_f16 v41, v45, v49, v41
	;;#ASMEND
	;;#ASMSTART
	v_dot2_f32_f16 v41, v46, v50, v41
	;;#ASMEND
	;;#ASMSTART
	v_dot2_f32_f16 v41, v47, v51, v41
	;;#ASMEND
	s_wait_dscnt 0x0
	;;#ASMSTART
	v_dot2_f32_f16 v42, v44, v52, v42
	;;#ASMEND
	;;#ASMSTART
	v_dot2_f32_f16 v42, v45, v53, v42
	;;#ASMEND
	;;#ASMSTART
	v_dot2_f32_f16 v42, v46, v54, v42
	;;#ASMEND
	;;#ASMSTART
	v_dot2_f32_f16 v42, v47, v55, v42
	;;#ASMEND
	ds_load_b128 v[44:47], v28 offset:64
	ds_load_b128 v[48:51], v20 offset:192
	ds_load_b128 v[52:55], v20 offset:576
	s_wait_dscnt 0x1
	;;#ASMSTART
	v_dot2_f32_f16 v41, v44, v48, v41
	;;#ASMEND
	;;#ASMSTART
	v_dot2_f32_f16 v41, v45, v49, v41
	;;#ASMEND
	;;#ASMSTART
	v_dot2_f32_f16 v41, v46, v50, v41
	;;#ASMEND
	;;#ASMSTART
	v_dot2_f32_f16 v41, v47, v51, v41
	;;#ASMEND
	s_wait_dscnt 0x0
	;;#ASMSTART
	v_dot2_f32_f16 v42, v44, v52, v42
	;;#ASMEND
	;;#ASMSTART
	v_dot2_f32_f16 v42, v45, v53, v42
	;;#ASMEND
	;;#ASMSTART
	v_dot2_f32_f16 v42, v46, v54, v42
	;;#ASMEND
	;;#ASMSTART
	v_dot2_f32_f16 v42, v47, v55, v42
	;;#ASMEND
	ds_load_b128 v[44:47], v28 offset:80
	ds_load_b128 v[48:51], v20 offset:208
	ds_load_b128 v[52:55], v20 offset:592
	s_wait_dscnt 0x1
	;;#ASMSTART
	v_dot2_f32_f16 v41, v44, v48, v41
	;;#ASMEND
	;;#ASMSTART
	v_dot2_f32_f16 v41, v45, v49, v41
	;;#ASMEND
	;;#ASMSTART
	v_dot2_f32_f16 v41, v46, v50, v41
	;;#ASMEND
	;;#ASMSTART
	v_dot2_f32_f16 v41, v47, v51, v41
	;;#ASMEND
	s_wait_dscnt 0x0
	;;#ASMSTART
	v_dot2_f32_f16 v42, v44, v52, v42
	;;#ASMEND
	;;#ASMSTART
	v_dot2_f32_f16 v42, v45, v53, v42
	;;#ASMEND
	;;#ASMSTART
	v_dot2_f32_f16 v42, v46, v54, v42
	;;#ASMEND
	;;#ASMSTART
	v_dot2_f32_f16 v42, v47, v55, v42
	;;#ASMEND
	ds_load_b128 v[44:47], v28 offset:96
	ds_load_b128 v[48:51], v20 offset:224
	ds_load_b128 v[52:55], v20 offset:608
	s_wait_dscnt 0x1
	;;#ASMSTART
	v_dot2_f32_f16 v41, v44, v48, v41
	;;#ASMEND
	;;#ASMSTART
	v_dot2_f32_f16 v41, v45, v49, v41
	;;#ASMEND
	;;#ASMSTART
	v_dot2_f32_f16 v41, v46, v50, v41
	;;#ASMEND
	;;#ASMSTART
	v_dot2_f32_f16 v41, v47, v51, v41
	;;#ASMEND
	s_wait_dscnt 0x0
	;;#ASMSTART
	v_dot2_f32_f16 v42, v44, v52, v42
	;;#ASMEND
	;;#ASMSTART
	v_dot2_f32_f16 v42, v45, v53, v42
	;;#ASMEND
	;;#ASMSTART
	v_dot2_f32_f16 v42, v46, v54, v42
	;;#ASMEND
	;;#ASMSTART
	v_dot2_f32_f16 v42, v47, v55, v42
	;;#ASMEND
	ds_load_b128 v[44:47], v28 offset:112
	ds_load_b128 v[48:51], v20 offset:240
	ds_load_b128 v[52:55], v20 offset:624
	s_wait_dscnt 0x1
	;;#ASMSTART
	v_dot2_f32_f16 v41, v44, v48, v41
	;;#ASMEND
	;;#ASMSTART
	v_dot2_f32_f16 v41, v45, v49, v41
	;;#ASMEND
	;; [unrolled: 3-line block ×4, first 2 shown]
	s_wait_dscnt 0x0
	;;#ASMSTART
	v_dot2_f32_f16 v42, v44, v52, v42
	;;#ASMEND
	;;#ASMSTART
	v_dot2_f32_f16 v42, v45, v53, v42
	;;#ASMEND
	;; [unrolled: 3-line block ×4, first 2 shown]
	s_barrier_signal -1
	s_barrier_wait -1
	global_load_b128 v[44:47], v[2:3], off offset:256
	s_wait_loadcnt 0x0
	ds_store_b128 v27, v[44:47]
	s_wait_dscnt 0x0
	s_barrier_signal -1
	s_barrier_wait -1
	ds_load_b128 v[44:47], v28
	ds_load_b128 v[48:51], v20 offset:256
	ds_load_b128 v[52:55], v20 offset:640
	s_wait_dscnt 0x1
	;;#ASMSTART
	v_dot2_f32_f16 v41, v44, v48, v41
	;;#ASMEND
	;;#ASMSTART
	v_dot2_f32_f16 v41, v45, v49, v41
	;;#ASMEND
	;;#ASMSTART
	v_dot2_f32_f16 v41, v46, v50, v41
	;;#ASMEND
	;;#ASMSTART
	v_dot2_f32_f16 v41, v47, v51, v41
	;;#ASMEND
	s_wait_dscnt 0x0
	;;#ASMSTART
	v_dot2_f32_f16 v42, v44, v52, v42
	;;#ASMEND
	;;#ASMSTART
	v_dot2_f32_f16 v42, v45, v53, v42
	;;#ASMEND
	;;#ASMSTART
	v_dot2_f32_f16 v42, v46, v54, v42
	;;#ASMEND
	;;#ASMSTART
	v_dot2_f32_f16 v42, v47, v55, v42
	;;#ASMEND
	ds_load_b128 v[44:47], v28 offset:16
	ds_load_b128 v[48:51], v20 offset:272
	ds_load_b128 v[52:55], v20 offset:656
	s_wait_dscnt 0x1
	;;#ASMSTART
	v_dot2_f32_f16 v41, v44, v48, v41
	;;#ASMEND
	;;#ASMSTART
	v_dot2_f32_f16 v41, v45, v49, v41
	;;#ASMEND
	;;#ASMSTART
	v_dot2_f32_f16 v41, v46, v50, v41
	;;#ASMEND
	;;#ASMSTART
	v_dot2_f32_f16 v41, v47, v51, v41
	;;#ASMEND
	s_wait_dscnt 0x0
	;;#ASMSTART
	v_dot2_f32_f16 v42, v44, v52, v42
	;;#ASMEND
	;;#ASMSTART
	v_dot2_f32_f16 v42, v45, v53, v42
	;;#ASMEND
	;;#ASMSTART
	v_dot2_f32_f16 v42, v46, v54, v42
	;;#ASMEND
	;;#ASMSTART
	v_dot2_f32_f16 v42, v47, v55, v42
	;;#ASMEND
	ds_load_b128 v[44:47], v28 offset:32
	;; [unrolled: 29-line block ×7, first 2 shown]
	ds_load_b128 v[48:51], v20 offset:368
	ds_load_b128 v[52:55], v20 offset:752
	s_wait_dscnt 0x1
	;;#ASMSTART
	v_dot2_f32_f16 v41, v44, v48, v41
	;;#ASMEND
	;;#ASMSTART
	v_dot2_f32_f16 v41, v45, v49, v41
	;;#ASMEND
	;; [unrolled: 3-line block ×4, first 2 shown]
	s_wait_dscnt 0x0
	;;#ASMSTART
	v_dot2_f32_f16 v42, v44, v52, v42
	;;#ASMEND
	;;#ASMSTART
	v_dot2_f32_f16 v42, v45, v53, v42
	;;#ASMEND
	;; [unrolled: 3-line block ×4, first 2 shown]
	global_load_u16 v14, v14, s[34:35] scale_offset
	s_wait_loadcnt 0x0
	s_barrier_signal -1
	s_barrier_wait -1
	global_load_b128 v[0:3], v[0:1], off
	s_wait_xcnt 0x1
	v_cvt_f32_f16_e32 v14, v14
	s_delay_alu instid0(VALU_DEP_1) | instskip(NEXT) | instid1(VALU_DEP_1)
	v_dual_add_f32 v41, v41, v14 :: v_dual_add_f32 v42, v42, v14
	v_add_f32_e32 v14, 0x40051340, v41
	s_delay_alu instid0(VALU_DEP_1) | instskip(NEXT) | instid1(VALU_DEP_3)
	v_max_num_f32_e32 v14, v15, v14
	v_add_f32_e32 v44, 0x40051340, v42
	s_delay_alu instid0(VALU_DEP_1) | instskip(SKIP_4) | instid1(VALU_DEP_1)
	v_max_num_f32_e32 v15, v40, v44
	ds_bpermute_b32 v40, v56, v14
	ds_bpermute_b32 v44, v56, v15
	s_wait_dscnt 0x0
	v_max_num_f32_e32 v44, v44, v44
	v_max_num_f32_e32 v15, v15, v44
	ds_bpermute_b32 v44, v57, v15
	s_wait_dscnt 0x0
	v_max_num_f32_e32 v44, v44, v44
	s_delay_alu instid0(VALU_DEP_1) | instskip(SKIP_1) | instid1(VALU_DEP_1)
	v_max_num_f32_e32 v15, v15, v44
	v_max_num_f32_e32 v40, v40, v40
	;; [unrolled: 1-line block ×3, first 2 shown]
	ds_bpermute_b32 v40, v57, v14
	s_wait_dscnt 0x0
	v_max_num_f32_e32 v40, v40, v40
	s_delay_alu instid0(VALU_DEP_1) | instskip(SKIP_3) | instid1(VALU_DEP_1)
	v_max_num_f32_e32 v14, v14, v40
	ds_bpermute_b32 v40, v43, v14
	s_wait_dscnt 0x0
	v_max_num_f32_e32 v40, v40, v40
	v_max_num_f32_e32 v14, v14, v40
	ds_bpermute_b32 v40, v58, v14
	s_wait_dscnt 0x0
	v_max_num_f32_e32 v40, v40, v40
	s_delay_alu instid0(VALU_DEP_1) | instskip(SKIP_3) | instid1(VALU_DEP_1)
	v_max_num_f32_e32 v14, v14, v40
	ds_bpermute_b32 v40, v59, v14
	s_wait_dscnt 0x0
	v_max_num_f32_e32 v40, v40, v40
	v_max_num_f32_e32 v14, v14, v40
	s_delay_alu instid0(VALU_DEP_1) | instskip(SKIP_4) | instid1(VALU_DEP_1)
	v_sub_f32_e32 v40, v41, v14
	ds_bpermute_b32 v43, v43, v15
	v_cmp_ngt_f32_e32 vcc_lo, 0xc2ce8ed0, v40
	s_wait_dscnt 0x0
	v_max_num_f32_e32 v43, v43, v43
	v_max_num_f32_e32 v15, v15, v43
	ds_bpermute_b32 v43, v58, v15
	s_wait_dscnt 0x0
	v_max_num_f32_e32 v43, v43, v43
	s_delay_alu instid0(VALU_DEP_1) | instskip(SKIP_3) | instid1(VALU_DEP_1)
	v_max_num_f32_e32 v15, v15, v43
	ds_bpermute_b32 v43, v59, v15
	s_wait_dscnt 0x0
	v_max_num_f32_e32 v43, v43, v43
	v_max_num_f32_e32 v15, v15, v43
	v_sub_f32_e32 v39, v39, v14
	s_delay_alu instid0(VALU_DEP_2) | instskip(SKIP_1) | instid1(VALU_DEP_3)
	v_dual_mul_f32 v43, 0x3fb8aa3b, v40 :: v_dual_sub_f32 v38, v38, v15
	v_sub_f32_e32 v41, v42, v15
	v_mul_f32_e32 v42, 0x3fb8aa3b, v39
	s_delay_alu instid0(VALU_DEP_3)
	v_fma_f32 v48, 0x3fb8aa3b, v40, -v43
	v_rndne_f32_e32 v49, v43
	v_mul_f32_e32 v44, 0x3fb8aa3b, v38
	v_cmp_ngt_f32_e64 s4, 0xc2ce8ed0, v39
	v_fma_f32 v46, 0x3fb8aa3b, v39, -v42
	v_rndne_f32_e32 v47, v42
	v_mul_f32_e32 v45, 0x3fb8aa3b, v41
	v_fma_f32 v50, 0x3fb8aa3b, v38, -v44
	v_rndne_f32_e32 v51, v44
	v_dual_fmac_f32 v46, 0x32a5705f, v39 :: v_dual_sub_f32 v43, v43, v49
	v_sub_f32_e32 v42, v42, v47
	v_rndne_f32_e32 v53, v45
	v_fmac_f32_e32 v48, 0x32a5705f, v40
	v_fma_f32 v52, 0x3fb8aa3b, v41, -v45
	s_delay_alu instid0(VALU_DEP_4) | instskip(NEXT) | instid1(VALU_DEP_4)
	v_dual_sub_f32 v44, v44, v51 :: v_dual_add_f32 v42, v42, v46
	v_dual_sub_f32 v45, v45, v53 :: v_dual_fmac_f32 v50, 0x32a5705f, v38
	s_delay_alu instid0(VALU_DEP_4) | instskip(SKIP_1) | instid1(VALU_DEP_4)
	v_add_f32_e32 v43, v43, v48
	v_cvt_i32_f32_e32 v47, v47
	v_exp_f32_e32 v42, v42
	v_cvt_i32_f32_e32 v49, v49
	v_cmp_ngt_f32_e64 s3, 0xc2ce8ed0, v41
	v_exp_f32_e32 v43, v43
	v_cvt_i32_f32_e32 v51, v51
	v_cvt_i32_f32_e32 v53, v53
	v_cmp_ngt_f32_e64 s2, 0xc2ce8ed0, v38
	v_ldexp_f32 v42, v42, v47
	s_delay_alu instid0(TRANS32_DEP_1) | instskip(SKIP_1) | instid1(VALU_DEP_3)
	v_ldexp_f32 v43, v43, v49
	v_fmac_f32_e32 v52, 0x32a5705f, v41
	v_cndmask_b32_e64 v42, 0, v42, s4
	v_cmp_nlt_f32_e64 s4, 0x42b17218, v39
	s_delay_alu instid0(VALU_DEP_4) | instskip(NEXT) | instid1(VALU_DEP_4)
	v_dual_cndmask_b32 v39, 0, v43 :: v_dual_add_f32 v44, v44, v50
	v_add_f32_e32 v45, v45, v52
	v_cmp_nlt_f32_e32 vcc_lo, 0x42b17218, v38
	s_delay_alu instid0(VALU_DEP_3) | instskip(NEXT) | instid1(VALU_DEP_2)
	v_exp_f32_e32 v44, v44
	v_exp_f32_e32 v45, v45
	s_delay_alu instid0(TRANS32_DEP_2) | instskip(NEXT) | instid1(TRANS32_DEP_1)
	v_ldexp_f32 v44, v44, v51
	v_ldexp_f32 v45, v45, v53
	s_delay_alu instid0(VALU_DEP_1) | instskip(SKIP_3) | instid1(VALU_DEP_4)
	v_dual_cndmask_b32 v44, 0, v44, s2 :: v_dual_cndmask_b32 v43, 0, v45, s3
	v_cmp_nlt_f32_e64 s2, 0x42b17218, v41
	v_cmp_nlt_f32_e64 s3, 0x42b17218, v40
	v_cndmask_b32_e64 v40, 0x7f800000, v42, s4
	v_cndmask_b32_e32 v41, 0x7f800000, v44, vcc_lo
	s_delay_alu instid0(VALU_DEP_3) | instskip(SKIP_1) | instid1(VALU_DEP_4)
	v_cndmask_b32_e64 v38, 0x7f800000, v39, s3
	v_cndmask_b32_e64 v39, 0x7f800000, v43, s2
	v_cvt_f16_f32_e32 v43, v40
	s_delay_alu instid0(VALU_DEP_4) | instskip(NEXT) | instid1(VALU_DEP_3)
	v_cvt_f16_f32_e32 v44, v41
	v_cvt_pk_f16_f32 v42, v38, v39
	v_pk_fma_f32 v[6:7], v[6:7], v[40:41], v[38:39]
	ds_store_b32 v32, v42
	s_wait_loadcnt 0x0
	ds_store_b128 v31, v[0:3]
	s_wait_dscnt 0x0
	s_barrier_signal -1
	s_barrier_wait -1
	ds_load_b128 v[38:41], v30
	v_and_b32_e32 v58, 0xffff, v43
	v_and_b32_e32 v59, 0xffff, v44
	ds_load_2addr_b64 v[42:45], v33 offset1:32
	ds_load_b128 v[46:49], v30 offset:16
	ds_load_2addr_b64 v[50:53], v33 offset0:64 offset1:96
	ds_load_b128 v[54:57], v30 offset:32
	ds_load_b128 v[0:3], v30 offset:48
	v_mul_u32_u24_e32 v62, 0x10001, v58
	v_mul_u32_u24_e32 v59, 0x10001, v59
	s_delay_alu instid0(VALU_DEP_2) | instskip(NEXT) | instid1(VALU_DEP_2)
	v_pk_mul_f16 v36, v36, v62
	v_pk_mul_f16 v13, v13, v59
	s_wait_dscnt 0x5
	v_and_b32_e32 v58, 0xffff, v38
	v_lshrrev_b32_e32 v38, 16, v38
	s_wait_dscnt 0x3
	v_and_b32_e32 v65, 0xffff, v49
	s_wait_dscnt 0x0
	v_lshrrev_b32_e32 v66, 16, v3
	v_and_b32_e32 v67, 0xffff, v3
	v_mul_u32_u24_e32 v63, 0x10001, v58
	v_mul_u32_u24_e32 v38, 0x10001, v38
	s_delay_alu instid0(VALU_DEP_2) | instskip(NEXT) | instid1(VALU_DEP_2)
	v_pk_mul_f16 v58, v42, v63
	v_pk_mul_f16 v42, v42, v38
	v_pk_fma_f16 v36, v43, v63, v36
	v_pk_fma_f16 v13, v43, v38, v13
	v_and_b32_e32 v63, 0xffff, v41
	v_pk_fma_f16 v37, v37, v62, v58
	v_pk_fma_f16 v35, v35, v59, v42
	v_and_b32_e32 v42, 0xffff, v39
	v_lshrrev_b32_e32 v39, 16, v39
	ds_load_2addr_b64 v[58:61], v33 offset0:128 offset1:160
	v_lshrrev_b32_e32 v62, 16, v41
	v_mul_u32_u24_e32 v42, 0x10001, v42
	v_mul_u32_u24_e32 v39, 0x10001, v39
	s_delay_alu instid0(VALU_DEP_2) | instskip(NEXT) | instid1(VALU_DEP_2)
	v_pk_fma_f16 v43, v45, v42, v36
	v_pk_fma_f16 v13, v45, v39, v13
	;; [unrolled: 1-line block ×4, first 2 shown]
	v_and_b32_e32 v44, 0xffff, v40
	v_lshrrev_b32_e32 v45, 16, v40
	ds_load_2addr_b64 v[36:39], v33 offset0:192 offset1:224
	v_mul_u32_u24_e32 v40, 0x10001, v44
	v_mul_u32_u24_e32 v45, 0x10001, v45
	s_delay_alu instid0(VALU_DEP_2) | instskip(SKIP_1) | instid1(VALU_DEP_3)
	v_pk_fma_f16 v44, v51, v40, v43
	v_pk_fma_f16 v64, v50, v40, v42
	;; [unrolled: 1-line block ×4, first 2 shown]
	v_and_b32_e32 v45, 0xffff, v46
	v_mul_u32_u24_e32 v50, 0x10001, v63
	v_lshrrev_b32_e32 v51, 16, v46
	v_mul_u32_u24_e32 v46, 0x10001, v62
	v_and_b32_e32 v62, 0xffff, v48
	v_mul_u32_u24_e32 v45, 0x10001, v45
	v_pk_fma_f16 v44, v53, v50, v44
	v_pk_fma_f16 v50, v52, v50, v64
	;; [unrolled: 1-line block ×4, first 2 shown]
	v_and_b32_e32 v52, 0xffff, v47
	v_lshrrev_b32_e32 v64, 16, v49
	s_wait_dscnt 0x1
	v_pk_fma_f16 v49, v58, v45, v50
	v_mul_u32_u24_e32 v50, 0x10001, v51
	v_dual_lshrrev_b32 v53, 16, v47 :: v_dual_lshrrev_b32 v63, 16, v48
	v_pk_fma_f16 v48, v59, v45, v44
	ds_load_2addr_b64 v[40:43], v34 offset1:32
	v_pk_fma_f16 v13, v59, v50, v13
	v_pk_fma_f16 v35, v58, v50, v35
	v_mul_u32_u24_e32 v50, 0x10001, v52
	v_and_b32_e32 v52, 0xffff, v54
	v_lshrrev_b32_e32 v58, 16, v54
	v_and_b32_e32 v54, 0xffff, v55
	ds_load_2addr_b64 v[44:47], v34 offset0:64 offset1:96
	v_pk_fma_f16 v48, v61, v50, v48
	v_pk_fma_f16 v49, v60, v50, v49
	v_mul_u32_u24_e32 v50, 0x10001, v53
	v_dual_lshrrev_b32 v53, 16, v55 :: v_dual_lshrrev_b32 v55, 16, v56
	v_lshrrev_b32_e32 v59, 16, v57
	v_and_b32_e32 v56, 0xffff, v56
	s_delay_alu instid0(VALU_DEP_4)
	v_pk_fma_f16 v13, v61, v50, v13
	v_pk_fma_f16 v35, v60, v50, v35
	v_mul_u32_u24_e32 v50, 0x10001, v62
	v_mul_u32_u24_e32 v62, 0x10001, v63
	v_and_b32_e32 v63, 0xffff, v1
	v_and_b32_e32 v57, 0xffff, v57
	s_wait_dscnt 0x2
	v_pk_fma_f16 v60, v37, v50, v48
	v_pk_fma_f16 v61, v36, v50, v49
	;; [unrolled: 1-line block ×3, first 2 shown]
	v_mul_u32_u24_e32 v36, 0x10001, v65
	v_pk_fma_f16 v13, v37, v62, v13
	v_lshrrev_b32_e32 v62, 16, v0
	ds_load_2addr_b64 v[48:51], v34 offset0:128 offset1:160
	v_and_b32_e32 v65, 0xffff, v2
	v_pk_fma_f16 v37, v39, v36, v60
	v_and_b32_e32 v60, 0xffff, v0
	v_mul_u32_u24_e32 v0, 0x10001, v64
	v_pk_fma_f16 v36, v38, v36, v61
	v_dual_lshrrev_b32 v61, 16, v1 :: v_dual_lshrrev_b32 v64, 16, v2
	s_delay_alu instid0(VALU_DEP_3)
	v_pk_fma_f16 v13, v39, v0, v13
	v_pk_fma_f16 v35, v38, v0, v35
	v_mul_u32_u24_e32 v0, 0x10001, v52
	v_mul_u32_u24_e32 v38, 0x10001, v58
	;; [unrolled: 1-line block ×5, first 2 shown]
	s_wait_dscnt 0x2
	v_pk_fma_f16 v37, v41, v0, v37
	v_pk_fma_f16 v36, v40, v0, v36
	ds_load_2addr_b64 v[0:3], v34 offset0:192 offset1:224
	s_wait_dscnt 0x0
	s_barrier_signal -1
	s_barrier_wait -1
	v_pk_fma_f16 v13, v41, v38, v13
	v_pk_fma_f16 v35, v40, v38, v35
	;; [unrolled: 1-line block ×4, first 2 shown]
	global_load_b128 v[36:39], v[16:17], off
	s_wait_xcnt 0x0
	v_mul_u32_u24_e32 v16, 0x10001, v53
	v_mul_u32_u24_e32 v17, 0x10001, v56
	;; [unrolled: 1-line block ×5, first 2 shown]
	v_pk_fma_f16 v13, v43, v16, v13
	v_pk_fma_f16 v16, v42, v16, v35
	v_pk_fma_f16 v35, v45, v17, v40
	v_pk_fma_f16 v17, v44, v17, v41
	v_mul_u32_u24_e32 v57, 0x10001, v63
	v_pk_fma_f16 v13, v45, v52, v13
	v_pk_fma_f16 v16, v44, v52, v16
	v_pk_fma_f16 v35, v47, v53, v35
	v_pk_fma_f16 v17, v46, v53, v17
	v_mul_u32_u24_e32 v58, 0x10001, v61
	;; [unrolled: 5-line block ×3, first 2 shown]
	v_pk_fma_f16 v13, v49, v56, v13
	v_pk_fma_f16 v16, v48, v56, v16
	v_mul_u32_u24_e32 v60, 0x10001, v64
	v_pk_fma_f16 v35, v51, v57, v35
	v_pk_fma_f16 v17, v50, v57, v17
	;; [unrolled: 1-line block ×4, first 2 shown]
	v_mul_u32_u24_e32 v61, 0x10001, v67
	v_mul_u32_u24_e32 v62, 0x10001, v66
	v_pk_fma_f16 v35, v1, v59, v35
	v_pk_fma_f16 v1, v1, v60, v13
	;; [unrolled: 1-line block ×4, first 2 shown]
	s_delay_alu instid0(VALU_DEP_4) | instskip(NEXT) | instid1(VALU_DEP_4)
	v_pk_fma_f16 v16, v3, v61, v35
	v_pk_fma_f16 v17, v3, v62, v1
	s_delay_alu instid0(VALU_DEP_4) | instskip(NEXT) | instid1(VALU_DEP_4)
	v_pk_fma_f16 v13, v2, v61, v13
	v_pk_fma_f16 v35, v2, v62, v0
	s_wait_loadcnt 0x0
	ds_store_b128 v31, v[36:39]
	s_wait_dscnt 0x0
	s_barrier_signal -1
	s_barrier_wait -1
	ds_load_b128 v[36:39], v30 offset:64
	ds_load_b128 v[40:43], v30 offset:80
	;; [unrolled: 1-line block ×4, first 2 shown]
	s_wait_dscnt 0x3
	v_dual_lshrrev_b32 v48, 16, v36 :: v_dual_lshrrev_b32 v49, 16, v37
	s_wait_dscnt 0x1
	v_dual_lshrrev_b32 v58, 16, v0 :: v_dual_lshrrev_b32 v60, 16, v1
	v_and_b32_e32 v59, 0xffff, v0
	v_and_b32_e32 v61, 0xffff, v1
	v_dual_lshrrev_b32 v62, 16, v2 :: v_dual_lshrrev_b32 v64, 16, v3
	v_and_b32_e32 v63, 0xffff, v2
	v_and_b32_e32 v65, 0xffff, v3
	ds_load_2addr_b64 v[0:3], v33 offset1:32
	v_and_b32_e32 v36, 0xffff, v36
	v_and_b32_e32 v37, 0xffff, v37
	v_dual_lshrrev_b32 v50, 16, v38 :: v_dual_lshrrev_b32 v51, 16, v39
	v_and_b32_e32 v38, 0xffff, v38
	s_delay_alu instid0(VALU_DEP_4)
	v_mul_u32_u24_e32 v36, 0x10001, v36
	v_and_b32_e32 v39, 0xffff, v39
	v_dual_lshrrev_b32 v52, 16, v40 :: v_dual_lshrrev_b32 v53, 16, v41
	v_and_b32_e32 v40, 0xffff, v40
	v_and_b32_e32 v41, 0xffff, v41
	v_dual_lshrrev_b32 v54, 16, v42 :: v_dual_lshrrev_b32 v56, 16, v43
	v_and_b32_e32 v55, 0xffff, v42
	s_delay_alu instid0(VALU_DEP_4)
	v_mul_u32_u24_e32 v40, 0x10001, v40
	v_mul_u32_u24_e32 v42, 0x10001, v52
	;; [unrolled: 1-line block ×3, first 2 shown]
	v_and_b32_e32 v57, 0xffff, v43
	s_wait_dscnt 0x1
	v_dual_lshrrev_b32 v66, 16, v44 :: v_dual_lshrrev_b32 v68, 16, v45
	s_wait_dscnt 0x0
	v_pk_fma_f16 v13, v0, v36, v13
	v_pk_fma_f16 v16, v1, v36, v16
	v_mul_u32_u24_e32 v36, 0x10001, v48
	v_and_b32_e32 v67, 0xffff, v44
	v_and_b32_e32 v69, 0xffff, v45
	v_mul_u32_u24_e32 v44, 0x10001, v55
	v_mul_u32_u24_e32 v45, 0x10001, v54
	v_pk_fma_f16 v1, v1, v36, v17
	v_mul_u32_u24_e32 v17, 0x10001, v37
	v_pk_fma_f16 v0, v0, v36, v35
	v_mul_u32_u24_e32 v36, 0x10001, v38
	v_mul_u32_u24_e32 v37, 0x10001, v50
	;; [unrolled: 1-line block ×3, first 2 shown]
	v_pk_fma_f16 v13, v2, v17, v13
	v_pk_fma_f16 v16, v3, v17, v16
	v_mul_u32_u24_e32 v17, 0x10001, v49
	v_dual_lshrrev_b32 v70, 16, v46 :: v_dual_lshrrev_b32 v72, 16, v47
	v_and_b32_e32 v71, 0xffff, v46
	v_mul_u32_u24_e32 v46, 0x10001, v57
	s_delay_alu instid0(VALU_DEP_4)
	v_pk_fma_f16 v35, v2, v17, v0
	v_pk_fma_f16 v17, v3, v17, v1
	ds_load_2addr_b64 v[0:3], v33 offset0:64 offset1:96
	v_mul_u32_u24_e32 v48, 0x10001, v59
	v_mul_u32_u24_e32 v49, 0x10001, v58
	v_and_b32_e32 v73, 0xffff, v47
	v_mul_u32_u24_e32 v50, 0x10001, v61
	v_mul_u32_u24_e32 v52, 0x10001, v63
	;; [unrolled: 1-line block ×5, first 2 shown]
	s_wait_dscnt 0x0
	v_pk_fma_f16 v13, v0, v36, v13
	v_pk_fma_f16 v16, v1, v36, v16
	;; [unrolled: 1-line block ×4, first 2 shown]
	v_mul_u32_u24_e32 v17, 0x10001, v51
	v_pk_fma_f16 v13, v2, v38, v13
	v_pk_fma_f16 v16, v3, v38, v16
	ds_load_2addr_b64 v[36:39], v33 offset0:128 offset1:160
	v_mul_u32_u24_e32 v51, 0x10001, v60
	v_pk_fma_f16 v35, v2, v17, v0
	v_pk_fma_f16 v17, v3, v17, v1
	ds_load_2addr_b64 v[0:3], v33 offset0:192 offset1:224
	s_wait_dscnt 0x1
	v_pk_fma_f16 v13, v36, v40, v13
	v_pk_fma_f16 v16, v37, v40, v16
	v_pk_fma_f16 v35, v36, v42, v35
	v_pk_fma_f16 v17, v37, v42, v17
	v_mul_u32_u24_e32 v36, 0x10001, v53
	v_pk_fma_f16 v13, v38, v41, v13
	v_pk_fma_f16 v16, v39, v41, v16
	ds_load_2addr_b64 v[40:43], v34 offset1:32
	v_mul_u32_u24_e32 v53, 0x10001, v62
	v_pk_fma_f16 v35, v38, v36, v35
	v_pk_fma_f16 v17, v39, v36, v17
	ds_load_2addr_b64 v[36:39], v34 offset0:64 offset1:96
	s_wait_dscnt 0x2
	v_pk_fma_f16 v13, v0, v44, v13
	v_pk_fma_f16 v16, v1, v44, v16
	;; [unrolled: 1-line block ×4, first 2 shown]
	v_mul_u32_u24_e32 v17, 0x10001, v56
	v_pk_fma_f16 v13, v2, v46, v13
	v_pk_fma_f16 v16, v3, v46, v16
	ds_load_2addr_b64 v[44:47], v34 offset0:128 offset1:160
	v_mul_u32_u24_e32 v56, 0x10001, v67
	v_pk_fma_f16 v35, v2, v17, v0
	v_pk_fma_f16 v17, v3, v17, v1
	ds_load_2addr_b64 v[0:3], v34 offset0:192 offset1:224
	s_wait_dscnt 0x0
	s_barrier_signal -1
	s_barrier_wait -1
	v_pk_fma_f16 v13, v40, v48, v13
	v_pk_fma_f16 v35, v40, v49, v35
	;; [unrolled: 1-line block ×4, first 2 shown]
	s_delay_alu instid0(VALU_DEP_4) | instskip(NEXT) | instid1(VALU_DEP_4)
	v_pk_fma_f16 v13, v42, v50, v13
	v_pk_fma_f16 v35, v42, v51, v35
	s_delay_alu instid0(VALU_DEP_4) | instskip(NEXT) | instid1(VALU_DEP_4)
	v_pk_fma_f16 v16, v43, v50, v16
	v_pk_fma_f16 v17, v43, v51, v17
	s_load_b32 s2, s[6:7], 0x4
	v_pk_fma_f16 v13, v36, v52, v13
	v_pk_fma_f16 v35, v36, v53, v35
	v_pk_fma_f16 v16, v37, v52, v16
	v_pk_fma_f16 v17, v37, v53, v17
	v_mul_u32_u24_e32 v40, 0x10001, v69
	v_pk_fma_f16 v13, v38, v54, v13
	v_pk_fma_f16 v35, v38, v55, v35
	v_pk_fma_f16 v16, v39, v54, v16
	v_pk_fma_f16 v17, v39, v55, v17
	v_mul_u32_u24_e32 v41, 0x10001, v68
	;; [unrolled: 5-line block ×3, first 2 shown]
	v_mul_u32_u24_e32 v37, 0x10001, v70
	v_pk_fma_f16 v13, v46, v40, v13
	v_pk_fma_f16 v35, v46, v41, v35
	;; [unrolled: 1-line block ×4, first 2 shown]
	v_mul_u32_u24_e32 v38, 0x10001, v73
	v_mul_u32_u24_e32 v39, 0x10001, v72
	v_pk_fma_f16 v13, v0, v36, v13
	v_pk_fma_f16 v0, v0, v37, v35
	;; [unrolled: 1-line block ×4, first 2 shown]
	s_wait_kmcnt 0x0
	s_lshl_b32 s2, s2, 5
	v_pk_fma_f16 v37, v2, v38, v13
	v_pk_fma_f16 v35, v2, v39, v0
	;; [unrolled: 1-line block ×4, first 2 shown]
	s_add_co_i32 s10, s2, s10
	s_delay_alu instid0(SALU_CYCLE_1)
	s_cmp_ge_i32 s10, s30
	s_cbranch_scc0 .LBB5_13
; %bb.14:
	v_mov_b32_e32 v0, v21
.LBB5_15:
	v_cmp_lt_i32_e32 vcc_lo, v26, v12
	s_cmp_lg_u64 s[12:13], 0
	s_cselect_b32 s2, -1, 0
	s_cmp_eq_u32 s5, 0
	v_cndmask_b32_e32 v1, v0, v26, vcc_lo
	v_cmp_lt_i32_e32 vcc_lo, v25, v12
	s_cselect_b32 s3, -1, 0
	s_delay_alu instid0(SALU_CYCLE_1) | instskip(NEXT) | instid1(VALU_DEP_2)
	s_and_b32 s2, s3, s2
	v_lshlrev_b32_e32 v1, 2, v1
	ds_bpermute_b32 v2, v1, v6
	ds_bpermute_b32 v3, v1, v7
	v_cndmask_b32_e32 v1, v0, v25, vcc_lo
	v_cmp_lt_i32_e32 vcc_lo, v24, v12
	s_delay_alu instid0(VALU_DEP_2)
	v_lshlrev_b32_e32 v1, 2, v1
	s_wait_dscnt 0x0
	v_pk_add_f32 v[2:3], v[6:7], v[2:3]
	ds_bpermute_b32 v6, v1, v2
	ds_bpermute_b32 v7, v1, v3
	v_cndmask_b32_e32 v1, v0, v24, vcc_lo
	v_cmp_lt_i32_e32 vcc_lo, v23, v12
	s_delay_alu instid0(VALU_DEP_2)
	v_lshlrev_b32_e32 v1, 2, v1
	s_wait_dscnt 0x0
	v_pk_add_f32 v[2:3], v[2:3], v[6:7]
	ds_bpermute_b32 v6, v1, v2
	ds_bpermute_b32 v7, v1, v3
	v_cndmask_b32_e32 v1, v0, v23, vcc_lo
	v_cmp_lt_i32_e32 vcc_lo, v22, v12
	s_delay_alu instid0(VALU_DEP_2) | instskip(SKIP_2) | instid1(VALU_DEP_1)
	v_dual_cndmask_b32 v0, v0, v22 :: v_dual_lshlrev_b32 v1, 2, v1
	s_and_b32 vcc_lo, exec_lo, s2
	s_mov_b32 s2, 0
	v_lshlrev_b32_e32 v8, 2, v0
	s_wait_dscnt 0x0
	v_pk_add_f32 v[2:3], v[2:3], v[6:7]
	ds_bpermute_b32 v6, v1, v2
	ds_bpermute_b32 v7, v1, v3
	s_wait_dscnt 0x0
	v_pk_add_f32 v[0:1], v[2:3], v[6:7]
	v_add_nc_u32_e32 v2, s33, v4
	ds_bpermute_b32 v6, v8, v0
	ds_bpermute_b32 v7, v8, v1
	s_cbranch_vccnz .LBB5_18
; %bb.16:
	v_add_nc_u32_e32 v3, s33, v4
	s_wait_dscnt 0x0
	v_pk_add_f32 v[0:1], v[0:1], v[6:7]
	s_and_not1_b32 vcc_lo, exec_lo, s2
	s_cbranch_vccz .LBB5_19
; %bb.17:
	v_mov_b32_e32 v2, v3
	s_branch .LBB5_20
.LBB5_18:
                                        ; implicit-def: $vgpr3
	s_wait_dscnt 0x0
	v_pk_add_f32 v[0:1], v[0:1], v[6:7]
.LBB5_19:
	v_dual_ashrrev_i32 v3, 31, v2 :: v_dual_max_num_f32 v9, v15, v15
	s_delay_alu instid0(VALU_DEP_1) | instskip(SKIP_3) | instid1(VALU_DEP_1)
	v_lshl_add_u64 v[6:7], v[2:3], 2, s[12:13]
	global_load_b64 v[6:7], v[6:7], off
	s_wait_loadcnt 0x0
	v_dual_max_num_f32 v3, v14, v14 :: v_dual_max_num_f32 v10, v7, v7
	v_max_num_f32_e32 v9, v9, v10
	s_delay_alu instid0(VALU_DEP_1) | instskip(NEXT) | instid1(VALU_DEP_1)
	v_dual_max_num_f32 v4, v6, v6 :: v_dual_sub_f32 v10, v15, v9
	v_max_num_f32_e32 v8, v3, v4
	s_delay_alu instid0(VALU_DEP_1) | instskip(NEXT) | instid1(VALU_DEP_1)
	v_dual_sub_f32 v11, v7, v9 :: v_dual_sub_f32 v4, v6, v8
	v_mul_f32_e32 v7, 0x3fb8aa3b, v4
	v_sub_f32_e32 v3, v14, v8
	s_delay_alu instid0(VALU_DEP_2) | instskip(SKIP_1) | instid1(VALU_DEP_3)
	v_fma_f32 v17, 0x3fb8aa3b, v4, -v7
	v_rndne_f32_e32 v20, v7
	v_mul_f32_e32 v6, 0x3fb8aa3b, v3
	v_cmp_ngt_f32_e32 vcc_lo, 0xc2ce8ed0, v3
	s_delay_alu instid0(VALU_DEP_4) | instskip(NEXT) | instid1(VALU_DEP_4)
	v_fmac_f32_e32 v17, 0x32a5705f, v4
	v_dual_sub_f32 v7, v7, v20 :: v_dual_mul_f32 v12, 0x3fb8aa3b, v10
	s_delay_alu instid0(VALU_DEP_4) | instskip(SKIP_1) | instid1(VALU_DEP_3)
	v_fma_f32 v15, 0x3fb8aa3b, v3, -v6
	v_rndne_f32_e32 v16, v6
	v_add_f32_e32 v7, v7, v17
	s_delay_alu instid0(VALU_DEP_4) | instskip(SKIP_1) | instid1(VALU_DEP_4)
	v_fma_f32 v21, 0x3fb8aa3b, v10, -v12
	v_rndne_f32_e32 v22, v12
	v_dual_fmac_f32 v15, 0x32a5705f, v3 :: v_dual_sub_f32 v6, v6, v16
	v_cvt_i32_f32_e32 v16, v16
	s_delay_alu instid0(VALU_DEP_4) | instskip(NEXT) | instid1(VALU_DEP_4)
	v_fmac_f32_e32 v21, 0x32a5705f, v10
	v_sub_f32_e32 v12, v12, v22
	v_cvt_i32_f32_e32 v17, v22
	v_add_f32_e32 v6, v6, v15
	v_exp_f32_e32 v7, v7
	v_cvt_i32_f32_e32 v15, v20
	v_add_f32_e32 v12, v12, v21
	s_delay_alu instid0(VALU_DEP_3) | instskip(NEXT) | instid1(VALU_DEP_1)
	v_exp_f32_e32 v6, v6
	v_exp_f32_e32 v12, v12
	s_delay_alu instid0(TRANS32_DEP_2) | instskip(NEXT) | instid1(TRANS32_DEP_1)
	v_ldexp_f32 v6, v6, v16
	v_ldexp_f32 v12, v12, v17
	s_delay_alu instid0(VALU_DEP_2) | instskip(SKIP_1) | instid1(VALU_DEP_3)
	v_cndmask_b32_e32 v6, 0, v6, vcc_lo
	v_cmp_ngt_f32_e32 vcc_lo, 0xc2ce8ed0, v10
	v_cndmask_b32_e32 v12, 0, v12, vcc_lo
	v_cmp_nlt_f32_e32 vcc_lo, 0x42b17218, v3
	v_ldexp_f32 v3, v7, v15
	v_cndmask_b32_e32 v6, 0x7f800000, v6, vcc_lo
	v_cmp_nlt_f32_e32 vcc_lo, 0x42b17218, v10
	v_cndmask_b32_e32 v7, 0x7f800000, v12, vcc_lo
	v_cmp_ngt_f32_e32 vcc_lo, 0xc2ce8ed0, v4
	s_delay_alu instid0(VALU_DEP_4) | instskip(SKIP_3) | instid1(VALU_DEP_4)
	v_cvt_f16_f32_e32 v12, v6
	v_cndmask_b32_e32 v3, 0, v3, vcc_lo
	v_cmp_ngt_f32_e32 vcc_lo, 0xc2ce8ed0, v11
	v_mul_f32_e32 v14, 0x3fb8aa3b, v11
	v_and_b32_e32 v12, 0xffff, v12
	s_delay_alu instid0(VALU_DEP_2) | instskip(SKIP_1) | instid1(VALU_DEP_1)
	v_fma_f32 v23, 0x3fb8aa3b, v11, -v14
	v_rndne_f32_e32 v24, v14
	v_dual_fmac_f32 v23, 0x32a5705f, v11 :: v_dual_sub_f32 v14, v14, v24
	v_cvt_i32_f32_e32 v20, v24
	s_delay_alu instid0(VALU_DEP_2) | instskip(NEXT) | instid1(VALU_DEP_1)
	v_add_f32_e32 v14, v14, v23
	v_exp_f32_e32 v14, v14
	v_nop
	s_delay_alu instid0(TRANS32_DEP_1) | instskip(SKIP_1) | instid1(VALU_DEP_2)
	v_ldexp_f32 v10, v14, v20
	v_cvt_f16_f32_e32 v14, v7
	v_cndmask_b32_e32 v15, 0, v10, vcc_lo
	v_cmp_nlt_f32_e32 vcc_lo, 0x42b17218, v4
	v_mul_u32_u24_e32 v4, 0x10001, v12
	v_cndmask_b32_e32 v10, 0x7f800000, v3, vcc_lo
	v_and_b32_e32 v3, 0xffff, v14
	v_cmp_nlt_f32_e32 vcc_lo, 0x42b17218, v11
	s_delay_alu instid0(VALU_DEP_4) | instskip(SKIP_1) | instid1(VALU_DEP_4)
	v_pk_mul_f16 v37, v37, v4
	v_pk_mul_f16 v36, v36, v4
	v_mul_u32_u24_e32 v3, 0x10001, v3
	v_cndmask_b32_e32 v11, 0x7f800000, v15, vcc_lo
	v_mov_b64_e32 v[14:15], v[8:9]
	s_delay_alu instid0(VALU_DEP_3) | instskip(NEXT) | instid1(VALU_DEP_3)
	v_pk_mul_f16 v35, v35, v3
	v_pk_fma_f32 v[0:1], v[0:1], v[6:7], v[10:11]
	v_pk_mul_f16 v13, v13, v3
.LBB5_20:
	s_load_b32 s0, s[0:1], 0xd4
	v_mov_b32_e32 v4, 1.0
	s_wait_kmcnt 0x0
	s_cmp_lg_u32 s0, 1
	s_cselect_b32 s2, -1, 0
	s_cmp_eq_u32 s0, 1
	s_cselect_b32 s1, -1, 0
	s_and_b32 vcc_lo, exec_lo, s2
	s_cbranch_vccnz .LBB5_22
; %bb.21:
	v_div_scale_f32 v3, null, v0, v0, 1.0
	s_delay_alu instid0(VALU_DEP_1) | instskip(SKIP_1) | instid1(TRANS32_DEP_1)
	v_rcp_f32_e32 v4, v3
	v_nop
	v_fma_f32 v6, -v3, v4, 1.0
	s_delay_alu instid0(VALU_DEP_1) | instskip(SKIP_1) | instid1(VALU_DEP_1)
	v_fmac_f32_e32 v4, v6, v4
	v_div_scale_f32 v6, vcc_lo, 1.0, v0, 1.0
	v_mul_f32_e32 v7, v6, v4
	s_delay_alu instid0(VALU_DEP_1) | instskip(NEXT) | instid1(VALU_DEP_1)
	v_fma_f32 v8, -v3, v7, v6
	v_fmac_f32_e32 v7, v8, v4
	s_delay_alu instid0(VALU_DEP_1) | instskip(NEXT) | instid1(VALU_DEP_1)
	v_fma_f32 v3, -v3, v7, v6
	v_div_fmas_f32 v3, v3, v4, v7
	s_delay_alu instid0(VALU_DEP_1)
	v_div_fixup_f32 v4, v3, v0, 1.0
.LBB5_22:
	v_mad_u32 v3, s28, s22, v18
	v_lshrrev_b32_e32 v11, 16, v36
	v_cvt_f32_f16_e32 v6, v37
	v_cvt_f32_f16_e32 v10, v36
	v_cmp_eq_u32_e32 vcc_lo, 0, v5
	v_mov_b32_e32 v9, 0
	v_cvt_f32_f16_e32 v11, v11
	s_and_b32 s2, vcc_lo, s2
	v_mad_u32 v2, v3, s23, v2
	v_lshrrev_b32_e32 v3, 16, v37
	s_delay_alu instid0(VALU_DEP_1) | instskip(NEXT) | instid1(VALU_DEP_1)
	v_cvt_f32_f16_e32 v7, v3
	v_pk_mul_f32 v[6:7], v[4:5], v[6:7] op_sel_hi:[0,1]
	s_delay_alu instid0(VALU_DEP_4) | instskip(NEXT) | instid1(VALU_DEP_1)
	v_mad_u32 v2, s0, v2, s5
	v_lshl_add_u32 v8, v2, 7, v19
	s_delay_alu instid0(VALU_DEP_1)
	v_lshl_add_u64 v[16:17], v[8:9], 2, s[16:17]
	v_pk_mul_f32 v[8:9], v[4:5], v[10:11] op_sel_hi:[0,1]
	global_store_b128 v[16:17], v[6:9], off
	s_wait_xcnt 0x0
	s_and_saveexec_b32 s3, s2
	s_cbranch_execz .LBB5_24
; %bb.23:
	v_dual_mov_b32 v4, v14 :: v_dual_mov_b32 v5, v0
	global_store_b64 v2, v[4:5], s[18:19] scale_offset
.LBB5_24:
	s_wait_xcnt 0x0
	s_or_b32 exec_lo, exec_lo, s3
	v_mov_b32_e32 v0, 1.0
	s_and_not1_b32 vcc_lo, exec_lo, s1
	s_cbranch_vccnz .LBB5_26
; %bb.25:
	v_div_scale_f32 v0, null, v1, v1, 1.0
	s_delay_alu instid0(VALU_DEP_1) | instskip(SKIP_1) | instid1(TRANS32_DEP_1)
	v_rcp_f32_e32 v3, v0
	v_nop
	v_fma_f32 v4, -v0, v3, 1.0
	s_delay_alu instid0(VALU_DEP_1) | instskip(SKIP_1) | instid1(VALU_DEP_1)
	v_fmac_f32_e32 v3, v4, v3
	v_div_scale_f32 v4, vcc_lo, 1.0, v1, 1.0
	v_mul_f32_e32 v5, v4, v3
	s_delay_alu instid0(VALU_DEP_1) | instskip(NEXT) | instid1(VALU_DEP_1)
	v_fma_f32 v6, -v0, v5, v4
	v_fmac_f32_e32 v5, v6, v3
	s_delay_alu instid0(VALU_DEP_1) | instskip(NEXT) | instid1(VALU_DEP_1)
	v_fma_f32 v0, -v0, v5, v4
	v_div_fmas_f32 v0, v0, v3, v5
	s_delay_alu instid0(VALU_DEP_1)
	v_div_fixup_f32 v0, v0, v1, 1.0
.LBB5_26:
	v_dual_add_nc_u32 v2, s0, v2 :: v_dual_lshrrev_b32 v3, 16, v35
	v_dual_mov_b32 v5, 0 :: v_dual_lshrrev_b32 v9, 16, v13
	v_cvt_f32_f16_e32 v6, v35
	s_delay_alu instid0(VALU_DEP_3) | instskip(NEXT) | instid1(VALU_DEP_4)
	v_lshl_add_u32 v4, v2, 7, v19
	v_cvt_f32_f16_e32 v7, v3
	v_cvt_f32_f16_e32 v8, v13
	;; [unrolled: 1-line block ×3, first 2 shown]
	s_delay_alu instid0(VALU_DEP_4) | instskip(NEXT) | instid1(VALU_DEP_4)
	v_lshl_add_u64 v[10:11], v[4:5], 2, s[16:17]
	v_pk_mul_f32 v[4:5], v[0:1], v[6:7] op_sel_hi:[0,1]
	s_delay_alu instid0(VALU_DEP_3)
	v_pk_mul_f32 v[6:7], v[0:1], v[8:9] op_sel_hi:[0,1]
	global_store_b128 v[10:11], v[4:7], off
	s_wait_xcnt 0x0
	s_and_saveexec_b32 s0, s2
	s_cbranch_execz .LBB5_28
; %bb.27:
	v_mov_b32_e32 v0, v15
	global_store_b64 v2, v[0:1], s[18:19] scale_offset
.LBB5_28:
	s_sendmsg sendmsg(MSG_DEALLOC_VGPRS)
	s_endpgm
	.section	.rodata,"a",@progbits
	.p2align	6, 0x0
	.amdhsa_kernel _ZL15flash_attn_tileILi192ELi128ELi1ELi16ELb0EEvPKcS1_S1_S1_S1_PKiPfP15HIP_vector_typeIfLj2EEffffjfiS5_IjLj3EEiiiiiiiiiiiliiliiiiil
		.amdhsa_group_segment_fixed_size 11776
		.amdhsa_private_segment_fixed_size 0
		.amdhsa_kernarg_size 464
		.amdhsa_user_sgpr_count 2
		.amdhsa_user_sgpr_dispatch_ptr 0
		.amdhsa_user_sgpr_queue_ptr 0
		.amdhsa_user_sgpr_kernarg_segment_ptr 1
		.amdhsa_user_sgpr_dispatch_id 0
		.amdhsa_user_sgpr_kernarg_preload_length 0
		.amdhsa_user_sgpr_kernarg_preload_offset 0
		.amdhsa_user_sgpr_private_segment_size 0
		.amdhsa_wavefront_size32 1
		.amdhsa_uses_dynamic_stack 0
		.amdhsa_enable_private_segment 0
		.amdhsa_system_sgpr_workgroup_id_x 1
		.amdhsa_system_sgpr_workgroup_id_y 1
		.amdhsa_system_sgpr_workgroup_id_z 1
		.amdhsa_system_sgpr_workgroup_info 0
		.amdhsa_system_vgpr_workitem_id 1
		.amdhsa_next_free_vgpr 74
		.amdhsa_next_free_sgpr 43
		.amdhsa_named_barrier_count 0
		.amdhsa_reserve_vcc 1
		.amdhsa_float_round_mode_32 0
		.amdhsa_float_round_mode_16_64 0
		.amdhsa_float_denorm_mode_32 3
		.amdhsa_float_denorm_mode_16_64 3
		.amdhsa_fp16_overflow 0
		.amdhsa_memory_ordered 1
		.amdhsa_forward_progress 1
		.amdhsa_inst_pref_size 62
		.amdhsa_round_robin_scheduling 0
		.amdhsa_exception_fp_ieee_invalid_op 0
		.amdhsa_exception_fp_denorm_src 0
		.amdhsa_exception_fp_ieee_div_zero 0
		.amdhsa_exception_fp_ieee_overflow 0
		.amdhsa_exception_fp_ieee_underflow 0
		.amdhsa_exception_fp_ieee_inexact 0
		.amdhsa_exception_int_div_zero 0
	.end_amdhsa_kernel
	.section	.text._ZL15flash_attn_tileILi192ELi128ELi1ELi16ELb0EEvPKcS1_S1_S1_S1_PKiPfP15HIP_vector_typeIfLj2EEffffjfiS5_IjLj3EEiiiiiiiiiiiliiliiiiil,"axG",@progbits,_ZL15flash_attn_tileILi192ELi128ELi1ELi16ELb0EEvPKcS1_S1_S1_S1_PKiPfP15HIP_vector_typeIfLj2EEffffjfiS5_IjLj3EEiiiiiiiiiiiliiliiiiil,comdat
.Lfunc_end5:
	.size	_ZL15flash_attn_tileILi192ELi128ELi1ELi16ELb0EEvPKcS1_S1_S1_S1_PKiPfP15HIP_vector_typeIfLj2EEffffjfiS5_IjLj3EEiiiiiiiiiiiliiliiiiil, .Lfunc_end5-_ZL15flash_attn_tileILi192ELi128ELi1ELi16ELb0EEvPKcS1_S1_S1_S1_PKiPfP15HIP_vector_typeIfLj2EEffffjfiS5_IjLj3EEiiiiiiiiiiiliiliiiiil
                                        ; -- End function
	.set _ZL15flash_attn_tileILi192ELi128ELi1ELi16ELb0EEvPKcS1_S1_S1_S1_PKiPfP15HIP_vector_typeIfLj2EEffffjfiS5_IjLj3EEiiiiiiiiiiiliiliiiiil.num_vgpr, 74
	.set _ZL15flash_attn_tileILi192ELi128ELi1ELi16ELb0EEvPKcS1_S1_S1_S1_PKiPfP15HIP_vector_typeIfLj2EEffffjfiS5_IjLj3EEiiiiiiiiiiiliiliiiiil.num_agpr, 0
	.set _ZL15flash_attn_tileILi192ELi128ELi1ELi16ELb0EEvPKcS1_S1_S1_S1_PKiPfP15HIP_vector_typeIfLj2EEffffjfiS5_IjLj3EEiiiiiiiiiiiliiliiiiil.numbered_sgpr, 43
	.set _ZL15flash_attn_tileILi192ELi128ELi1ELi16ELb0EEvPKcS1_S1_S1_S1_PKiPfP15HIP_vector_typeIfLj2EEffffjfiS5_IjLj3EEiiiiiiiiiiiliiliiiiil.num_named_barrier, 0
	.set _ZL15flash_attn_tileILi192ELi128ELi1ELi16ELb0EEvPKcS1_S1_S1_S1_PKiPfP15HIP_vector_typeIfLj2EEffffjfiS5_IjLj3EEiiiiiiiiiiiliiliiiiil.private_seg_size, 0
	.set _ZL15flash_attn_tileILi192ELi128ELi1ELi16ELb0EEvPKcS1_S1_S1_S1_PKiPfP15HIP_vector_typeIfLj2EEffffjfiS5_IjLj3EEiiiiiiiiiiiliiliiiiil.uses_vcc, 1
	.set _ZL15flash_attn_tileILi192ELi128ELi1ELi16ELb0EEvPKcS1_S1_S1_S1_PKiPfP15HIP_vector_typeIfLj2EEffffjfiS5_IjLj3EEiiiiiiiiiiiliiliiiiil.uses_flat_scratch, 0
	.set _ZL15flash_attn_tileILi192ELi128ELi1ELi16ELb0EEvPKcS1_S1_S1_S1_PKiPfP15HIP_vector_typeIfLj2EEffffjfiS5_IjLj3EEiiiiiiiiiiiliiliiiiil.has_dyn_sized_stack, 0
	.set _ZL15flash_attn_tileILi192ELi128ELi1ELi16ELb0EEvPKcS1_S1_S1_S1_PKiPfP15HIP_vector_typeIfLj2EEffffjfiS5_IjLj3EEiiiiiiiiiiiliiliiiiil.has_recursion, 0
	.set _ZL15flash_attn_tileILi192ELi128ELi1ELi16ELb0EEvPKcS1_S1_S1_S1_PKiPfP15HIP_vector_typeIfLj2EEffffjfiS5_IjLj3EEiiiiiiiiiiiliiliiiiil.has_indirect_call, 0
	.section	.AMDGPU.csdata,"",@progbits
; Kernel info:
; codeLenInByte = 7868
; TotalNumSgprs: 45
; NumVgprs: 74
; ScratchSize: 0
; MemoryBound: 0
; FloatMode: 240
; IeeeMode: 1
; LDSByteSize: 11776 bytes/workgroup (compile time only)
; SGPRBlocks: 0
; VGPRBlocks: 4
; NumSGPRsForWavesPerEU: 45
; NumVGPRsForWavesPerEU: 74
; NamedBarCnt: 0
; Occupancy: 12
; WaveLimiterHint : 1
; COMPUTE_PGM_RSRC2:SCRATCH_EN: 0
; COMPUTE_PGM_RSRC2:USER_SGPR: 2
; COMPUTE_PGM_RSRC2:TRAP_HANDLER: 0
; COMPUTE_PGM_RSRC2:TGID_X_EN: 1
; COMPUTE_PGM_RSRC2:TGID_Y_EN: 1
; COMPUTE_PGM_RSRC2:TGID_Z_EN: 1
; COMPUTE_PGM_RSRC2:TIDIG_COMP_CNT: 1
	.section	.text._ZL25flash_attn_mask_to_KV_maxILi1EEvPK7__half2Piiii,"axG",@progbits,_ZL25flash_attn_mask_to_KV_maxILi1EEvPK7__half2Piiii,comdat
	.globl	_ZL25flash_attn_mask_to_KV_maxILi1EEvPK7__half2Piiii ; -- Begin function _ZL25flash_attn_mask_to_KV_maxILi1EEvPK7__half2Piiii
	.p2align	8
	.type	_ZL25flash_attn_mask_to_KV_maxILi1EEvPK7__half2Piiii,@function
_ZL25flash_attn_mask_to_KV_maxILi1EEvPK7__half2Piiii: ; @_ZL25flash_attn_mask_to_KV_maxILi1EEvPK7__half2Piiii
; %bb.0:
	s_load_b128 s[4:7], s[0:1], 0x0
	s_mov_b32 s2, exec_lo
	v_cmpx_gt_u32_e32 32, v0
; %bb.1:
	v_dual_mov_b32 v2, 1 :: v_dual_lshlrev_b32 v1, 2, v0
	ds_store_b32 v1, v2
; %bb.2:
	s_or_b32 exec_lo, exec_lo, s2
	s_clause 0x1
	s_load_b96 s[8:10], s[0:1], 0x10
	s_load_b32 s11, s[0:1], 0x20
	s_wait_xcnt 0x0
	s_bfe_u32 s1, ttmp6, 0x4000c
	s_bfe_u32 s2, ttmp6, 0x40010
	s_add_co_i32 s1, s1, 1
	s_add_co_i32 s2, s2, 1
	s_and_b32 s0, ttmp6, 15
	s_bfe_u32 s3, ttmp6, 0x40004
	s_mul_i32 s1, ttmp9, s1
	s_mul_i32 s2, ttmp7, s2
	s_getreg_b32 s12, hwreg(HW_REG_IB_STS2, 6, 4)
	s_add_co_i32 s0, s0, s1
	s_add_co_i32 s3, s3, s2
	s_cmp_eq_u32 s12, 0
	v_dual_lshrrev_b32 v1, 3, v0 :: v_dual_bitop2_b32 v2, 31, v0 bitop3:0x40
	s_cselect_b32 s1, ttmp7, s3
	s_cselect_b32 s12, ttmp9, s0
	s_wait_dscnt 0x0
	s_barrier_signal -1
	s_wait_kmcnt 0x0
	s_mul_i32 s0, s10, s1
	s_mul_i32 s2, s9, s12
	s_barrier_wait -1
	s_add_co_i32 s2, s0, s2
	v_cmp_eq_u32_e64 s0, 0, v2
	s_ashr_i32 s3, s2, 31
	v_lshlrev_b32_e32 v2, 2, v2
	s_lshl_b64 s[2:3], s[2:3], 2
	s_delay_alu instid0(SALU_CYCLE_1)
	s_add_nc_u64 s[2:3], s[4:5], s[2:3]
	s_lshl_b32 s5, s8, 8
	s_branch .LBB6_4
.LBB6_3:                                ;   in Loop: Header=BB6_4 Depth=1
	s_or_b32 exec_lo, exec_lo, s9
	s_wait_dscnt 0x0
	s_barrier_signal -1
	s_barrier_wait -1
	ds_load_b32 v3, v2
	s_wait_dscnt 0x0
	s_barrier_signal -1
	s_barrier_wait -1
	v_cmp_ne_u32_e32 vcc_lo, 0, v3
	s_cmp_lg_u32 vcc_lo, exec_lo
	s_cselect_b32 s8, -1, 0
	s_delay_alu instid0(SALU_CYCLE_1)
	s_and_b32 vcc_lo, exec_lo, s8
	s_cbranch_vccnz .LBB6_8
.LBB6_4:                                ; =>This Inner Loop Header: Depth=1
	s_mov_b32 s4, s5
	s_addk_co_i32 s5, 0xff00
	s_delay_alu instid0(SALU_CYCLE_1)
	s_cmp_lt_i32 s5, 0
	s_cbranch_scc1 .LBB6_7
; %bb.5:                                ;   in Loop: Header=BB6_4 Depth=1
	s_lshr_b32 s9, s5, 1
	s_mov_b32 s8, exec_lo
	v_add_nc_u32_e32 v3, s9, v0
	global_load_b32 v3, v3, s[2:3] scale_offset
	s_wait_loadcnt 0x0
	v_lshrrev_b32_e32 v4, 16, v3
	v_cmp_class_f16_e64 s9, v3, 0x204
	s_delay_alu instid0(VALU_DEP_2) | instskip(SKIP_1) | instid1(SALU_CYCLE_1)
	v_cmp_class_f16_e64 s10, v4, 0x204
	s_and_b32 s9, s9, s10
	v_cndmask_b32_e64 v3, 0, 1, s9
	s_delay_alu instid0(VALU_DEP_1)
	v_cmp_ne_u32_e32 vcc_lo, 0, v3
	s_and_saveexec_b32 s9, s0
	s_cbranch_execz .LBB6_3
; %bb.6:                                ;   in Loop: Header=BB6_4 Depth=1
	s_cmp_eq_u32 vcc_lo, s8
	s_cselect_b32 s8, -1, 0
	s_delay_alu instid0(SALU_CYCLE_1)
	v_cndmask_b32_e64 v3, 0, 1, s8
	ds_store_b32 v1, v3
	s_branch .LBB6_3
.LBB6_7:                                ;   in Loop: Header=BB6_4 Depth=1
	s_cbranch_execz .LBB6_4
.LBB6_8:
	s_mov_b32 s0, exec_lo
	v_cmpx_eq_u32_e32 0, v0
	s_cbranch_execz .LBB6_10
; %bb.9:
	s_mul_i32 s0, s11, s1
	v_mov_b32_e32 v1, s4
	s_add_co_i32 s0, s0, s12
	s_delay_alu instid0(SALU_CYCLE_1)
	v_mov_b32_e32 v0, s0
	global_store_b32 v0, v1, s[6:7] scale_offset
.LBB6_10:
	s_endpgm
	.section	.rodata,"a",@progbits
	.p2align	6, 0x0
	.amdhsa_kernel _ZL25flash_attn_mask_to_KV_maxILi1EEvPK7__half2Piiii
		.amdhsa_group_segment_fixed_size 128
		.amdhsa_private_segment_fixed_size 0
		.amdhsa_kernarg_size 288
		.amdhsa_user_sgpr_count 2
		.amdhsa_user_sgpr_dispatch_ptr 0
		.amdhsa_user_sgpr_queue_ptr 0
		.amdhsa_user_sgpr_kernarg_segment_ptr 1
		.amdhsa_user_sgpr_dispatch_id 0
		.amdhsa_user_sgpr_kernarg_preload_length 0
		.amdhsa_user_sgpr_kernarg_preload_offset 0
		.amdhsa_user_sgpr_private_segment_size 0
		.amdhsa_wavefront_size32 1
		.amdhsa_uses_dynamic_stack 0
		.amdhsa_enable_private_segment 0
		.amdhsa_system_sgpr_workgroup_id_x 1
		.amdhsa_system_sgpr_workgroup_id_y 1
		.amdhsa_system_sgpr_workgroup_id_z 0
		.amdhsa_system_sgpr_workgroup_info 0
		.amdhsa_system_vgpr_workitem_id 0
		.amdhsa_next_free_vgpr 5
		.amdhsa_next_free_sgpr 13
		.amdhsa_named_barrier_count 0
		.amdhsa_reserve_vcc 1
		.amdhsa_float_round_mode_32 0
		.amdhsa_float_round_mode_16_64 0
		.amdhsa_float_denorm_mode_32 3
		.amdhsa_float_denorm_mode_16_64 3
		.amdhsa_fp16_overflow 0
		.amdhsa_memory_ordered 1
		.amdhsa_forward_progress 1
		.amdhsa_inst_pref_size 4
		.amdhsa_round_robin_scheduling 0
		.amdhsa_exception_fp_ieee_invalid_op 0
		.amdhsa_exception_fp_denorm_src 0
		.amdhsa_exception_fp_ieee_div_zero 0
		.amdhsa_exception_fp_ieee_overflow 0
		.amdhsa_exception_fp_ieee_underflow 0
		.amdhsa_exception_fp_ieee_inexact 0
		.amdhsa_exception_int_div_zero 0
	.end_amdhsa_kernel
	.section	.text._ZL25flash_attn_mask_to_KV_maxILi1EEvPK7__half2Piiii,"axG",@progbits,_ZL25flash_attn_mask_to_KV_maxILi1EEvPK7__half2Piiii,comdat
.Lfunc_end6:
	.size	_ZL25flash_attn_mask_to_KV_maxILi1EEvPK7__half2Piiii, .Lfunc_end6-_ZL25flash_attn_mask_to_KV_maxILi1EEvPK7__half2Piiii
                                        ; -- End function
	.set _ZL25flash_attn_mask_to_KV_maxILi1EEvPK7__half2Piiii.num_vgpr, 5
	.set _ZL25flash_attn_mask_to_KV_maxILi1EEvPK7__half2Piiii.num_agpr, 0
	.set _ZL25flash_attn_mask_to_KV_maxILi1EEvPK7__half2Piiii.numbered_sgpr, 13
	.set _ZL25flash_attn_mask_to_KV_maxILi1EEvPK7__half2Piiii.num_named_barrier, 0
	.set _ZL25flash_attn_mask_to_KV_maxILi1EEvPK7__half2Piiii.private_seg_size, 0
	.set _ZL25flash_attn_mask_to_KV_maxILi1EEvPK7__half2Piiii.uses_vcc, 1
	.set _ZL25flash_attn_mask_to_KV_maxILi1EEvPK7__half2Piiii.uses_flat_scratch, 0
	.set _ZL25flash_attn_mask_to_KV_maxILi1EEvPK7__half2Piiii.has_dyn_sized_stack, 0
	.set _ZL25flash_attn_mask_to_KV_maxILi1EEvPK7__half2Piiii.has_recursion, 0
	.set _ZL25flash_attn_mask_to_KV_maxILi1EEvPK7__half2Piiii.has_indirect_call, 0
	.section	.AMDGPU.csdata,"",@progbits
; Kernel info:
; codeLenInByte = 456
; TotalNumSgprs: 15
; NumVgprs: 5
; ScratchSize: 0
; MemoryBound: 0
; FloatMode: 240
; IeeeMode: 1
; LDSByteSize: 128 bytes/workgroup (compile time only)
; SGPRBlocks: 0
; VGPRBlocks: 0
; NumSGPRsForWavesPerEU: 15
; NumVGPRsForWavesPerEU: 5
; NamedBarCnt: 0
; Occupancy: 16
; WaveLimiterHint : 0
; COMPUTE_PGM_RSRC2:SCRATCH_EN: 0
; COMPUTE_PGM_RSRC2:USER_SGPR: 2
; COMPUTE_PGM_RSRC2:TRAP_HANDLER: 0
; COMPUTE_PGM_RSRC2:TGID_X_EN: 1
; COMPUTE_PGM_RSRC2:TGID_Y_EN: 1
; COMPUTE_PGM_RSRC2:TGID_Z_EN: 0
; COMPUTE_PGM_RSRC2:TIDIG_COMP_CNT: 0
	.section	.text._ZL33flash_attn_stream_k_fixup_uniformILi128ELi1ELi16EEvPfPK15HIP_vector_typeIfLj2EEiiiiiiS1_IjLj3EES5_S5_,"axG",@progbits,_ZL33flash_attn_stream_k_fixup_uniformILi128ELi1ELi16EEvPfPK15HIP_vector_typeIfLj2EEiiiiiiS1_IjLj3EES5_S5_,comdat
	.globl	_ZL33flash_attn_stream_k_fixup_uniformILi128ELi1ELi16EEvPfPK15HIP_vector_typeIfLj2EEiiiiiiS1_IjLj3EES5_S5_ ; -- Begin function _ZL33flash_attn_stream_k_fixup_uniformILi128ELi1ELi16EEvPfPK15HIP_vector_typeIfLj2EEiiiiiiS1_IjLj3EES5_S5_
	.p2align	8
	.type	_ZL33flash_attn_stream_k_fixup_uniformILi128ELi1ELi16EEvPfPK15HIP_vector_typeIfLj2EEiiiiiiS1_IjLj3EES5_S5_,@function
_ZL33flash_attn_stream_k_fixup_uniformILi128ELi1ELi16EEvPfPK15HIP_vector_typeIfLj2EEiiiiiiS1_IjLj3EES5_S5_: ; @_ZL33flash_attn_stream_k_fixup_uniformILi128ELi1ELi16EEvPfPK15HIP_vector_typeIfLj2EEiiiiiiS1_IjLj3EES5_S5_
; %bb.0:
	s_load_b256 s[4:11], s[0:1], 0x1c
	s_bfe_u32 s2, ttmp6, 0x40014
	s_lshr_b32 s3, ttmp7, 16
	s_add_co_i32 s2, s2, 1
	s_bfe_u32 s13, ttmp6, 0x40010
	s_mul_i32 s2, s3, s2
	s_bfe_u32 s12, ttmp6, 0x40008
	s_and_b32 s15, ttmp7, 0xffff
	s_add_co_i32 s13, s13, 1
	s_bfe_u32 s14, ttmp6, 0x4000c
	s_add_co_i32 s12, s12, s2
	s_mul_i32 s2, s15, s13
	s_bfe_u32 s13, ttmp6, 0x40004
	s_add_co_i32 s14, s14, 1
	s_add_co_i32 s13, s13, s2
	s_and_b32 s2, ttmp6, 15
	s_mul_i32 s14, ttmp9, s14
	s_getreg_b32 s20, hwreg(HW_REG_IB_STS2, 6, 4)
	s_add_co_i32 s2, s2, s14
	s_load_b128 s[16:19], s[0:1], 0x3c
	s_cmp_eq_u32 s20, 0
	s_cselect_b32 s14, ttmp9, s2
	s_cselect_b32 s13, s15, s13
	s_wait_kmcnt 0x0
	s_mul_hi_u32 s2, s7, s14
	s_cselect_b32 s12, s3, s12
	s_add_co_i32 s2, s14, s2
	s_delay_alu instid0(SALU_CYCLE_1) | instskip(NEXT) | instid1(SALU_CYCLE_1)
	s_lshr_b32 s7, s2, s8
	s_mul_i32 s2, s7, s9
	s_delay_alu instid0(SALU_CYCLE_1) | instskip(SKIP_2) | instid1(SALU_CYCLE_1)
	s_sub_co_i32 s8, s14, s2
	s_load_b64 s[2:3], s[0:1], 0x10
	s_mul_hi_u32 s9, s8, s10
	s_add_co_i32 s9, s8, s9
	s_delay_alu instid0(SALU_CYCLE_1) | instskip(NEXT) | instid1(SALU_CYCLE_1)
	s_lshr_b32 s15, s9, s11
	s_mul_i32 s9, s15, s16
	s_delay_alu instid0(SALU_CYCLE_1) | instskip(NEXT) | instid1(SALU_CYCLE_1)
	s_sub_co_i32 s8, s8, s9
	s_mul_hi_u32 s9, s8, s17
	s_delay_alu instid0(SALU_CYCLE_1) | instskip(NEXT) | instid1(SALU_CYCLE_1)
	s_add_co_i32 s9, s8, s9
	s_lshr_b32 s9, s9, s18
	s_delay_alu instid0(SALU_CYCLE_1) | instskip(SKIP_2) | instid1(SALU_CYCLE_1)
	s_mul_i32 s10, s9, s19
	s_lshl_b32 s17, s9, 4
	s_sub_co_i32 s16, s8, s10
	s_add_co_i32 s16, s16, s13
	s_wait_kmcnt 0x0
	s_cmp_lt_i32 s16, s2
	s_cselect_b32 s8, -1, 0
	s_add_co_i32 s17, s17, s12
	s_delay_alu instid0(SALU_CYCLE_1) | instskip(SKIP_1) | instid1(SALU_CYCLE_1)
	s_cmp_lt_i32 s17, s5
	s_cselect_b32 s9, -1, 0
	s_and_b32 s8, s8, s9
	s_delay_alu instid0(SALU_CYCLE_1)
	s_and_not1_b32 vcc_lo, exec_lo, s8
	s_cbranch_vccnz .LBB7_6
; %bb.1:
	s_load_b128 s[8:11], s[0:1], 0x0
	s_mul_i32 s7, s7, s2
	s_mul_i32 s15, s15, s5
	s_wait_xcnt 0x0
	s_add_co_i32 s0, s16, s7
	s_add_co_i32 s1, s17, s15
	s_mul_i32 s0, s0, s3
	s_mul_i32 s7, s6, s14
	s_add_co_i32 s1, s1, s0
	s_add_co_i32 s5, s7, s6
	v_lshl_or_b32 v4, s1, 7, v0
	s_add_co_i32 s0, s13, s5
	s_add_co_i32 s2, s5, -2
	s_lshl_b32 s0, s0, 4
	s_delay_alu instid0(SALU_CYCLE_1) | instskip(SKIP_2) | instid1(SALU_CYCLE_1)
	s_add_co_i32 s0, s0, s12
	v_ashrrev_i32_e32 v5, 31, v4
	s_add_co_i32 s0, s0, -16
	s_ashr_i32 s1, s0, 31
	s_delay_alu instid0(SALU_CYCLE_1)
	s_lshl_b64 s[0:1], s[0:1], 3
	s_wait_kmcnt 0x0
	global_load_b32 v3, v4, s[8:9] scale_offset
	s_add_nc_u64 s[0:1], s[10:11], s[0:1]
	s_cmp_lt_i32 s2, s7
	s_load_b32 s15, s[0:1], 0x4
	s_cbranch_scc1 .LBB7_4
; %bb.2:
	s_wait_xcnt 0x0
	s_load_b32 s0, s[0:1], 0x0
	s_add_co_i32 s14, s14, 1
	s_wait_xcnt 0x0
	s_lshl_b32 s1, s12, 7
	s_mul_i32 s3, s6, s14
	s_lshl_b32 s6, s13, 11
	s_lshl_b32 s14, s3, 11
	s_add_co_i32 s1, s1, s6
	s_lshl_b32 s2, s4, 6
	s_add_co_i32 s1, s1, s14
	s_add_co_i32 s4, s13, s4
	s_wait_kmcnt 0x0
	v_dual_mov_b32 v2, s15 :: v_dual_bitop2_b32 v0, s1, v0 bitop3:0x54
	s_add_co_i32 s4, s4, s5
	s_ashr_i32 s3, s2, 31
	s_lshl_b32 s1, s4, 4
	s_delay_alu instid0(VALU_DEP_1)
	v_add_nc_u32_e32 v0, 0xfffff000, v0
	s_lshl_b64 s[2:3], s[2:3], 2
	s_add_co_i32 s12, s12, s1
	s_add_nc_u64 s[2:3], s[10:11], s[2:3]
	s_add_co_i32 s1, s5, -1
	s_sub_co_i32 s4, s12, 32
.LBB7_3:                                ; =>This Inner Loop Header: Depth=1
	global_load_b32 v7, v0, s[2:3] scale_offset
	s_ashr_i32 s5, s4, 31
	v_max_num_f32_e64 v1, s0, s0
	s_lshl_b64 s[12:13], s[4:5], 3
	s_delay_alu instid0(SALU_CYCLE_1) | instskip(SKIP_1) | instid1(VALU_DEP_1)
	s_add_nc_u64 s[12:13], s[10:11], s[12:13]
	s_load_b64 s[12:13], s[12:13], 0x0
	v_readfirstlane_b32 s5, v1
	v_add_nc_u32_e32 v0, 0xfffff800, v0
	s_wait_kmcnt 0x0
	v_max_num_f32_e64 v1, s12, s12
	s_delay_alu instid0(VALU_DEP_1) | instskip(SKIP_1) | instid1(SALU_CYCLE_3)
	v_readfirstlane_b32 s6, v1
	s_max_num_f32 s5, s5, s6
	s_sub_f32 s0, s0, s5
	s_sub_f32 s6, s12, s5
	s_delay_alu instid0(SALU_CYCLE_2) | instskip(NEXT) | instid1(SALU_CYCLE_2)
	s_mul_f32 s12, s0, 0x3fb8aa3b
	s_mul_f32 s14, s6, 0x3fb8aa3b
	s_delay_alu instid0(SALU_CYCLE_2)
	s_xor_b32 s15, s12, 0x80000000
	s_rndne_f32 s16, s12
	s_fmamk_f32 s15, s0, 0x3fb8aa3b, s15
	s_cmp_nlt_f32 s0, 0xc2ce8ed0
	s_rndne_f32 s17, s14
	s_sub_f32 s12, s12, s16
	s_fmamk_f32 s15, s0, 0x32a5705f, s15
	s_cselect_b32 vcc_lo, -1, 0
	s_cmp_ngt_f32 s0, 0x42b17218
	s_delay_alu instid0(SALU_CYCLE_1) | instskip(SKIP_2) | instid1(SALU_CYCLE_1)
	s_add_f32 s12, s12, s15
	s_cvt_i32_f32 s15, s16
	s_sub_f32 s16, s14, s17
	v_s_exp_f32 s12, s12
	v_nop
	s_delay_alu instid0(TRANS32_DEP_1) | instskip(SKIP_1) | instid1(VALU_DEP_1)
	v_ldexp_f32 v1, s12, s15
	s_cvt_i32_f32 s12, s17
	v_cndmask_b32_e32 v1, 0, v1, vcc_lo
	s_cselect_b32 vcc_lo, -1, 0
	s_cmp_ge_f32 s0, 0xc1a00000
	s_delay_alu instid0(VALU_DEP_1)
	v_cndmask_b32_e32 v1, 0x7f800000, v1, vcc_lo
	s_cselect_b32 vcc_lo, -1, 0
	s_xor_b32 s0, s14, 0x80000000
	s_cmp_nlt_f32 s6, 0xc2ce8ed0
	s_fmamk_f32 s0, s6, 0x3fb8aa3b, s0
	v_cndmask_b32_e32 v10, 0, v1, vcc_lo
	s_delay_alu instid0(SALU_CYCLE_2) | instskip(NEXT) | instid1(SALU_CYCLE_3)
	s_fmamk_f32 s0, s6, 0x32a5705f, s0
	s_add_f32 s0, s16, s0
	s_delay_alu instid0(SALU_CYCLE_3) | instskip(SKIP_1) | instid1(TRANS32_DEP_1)
	v_s_exp_f32 s0, s0
	v_nop
	v_ldexp_f32 v6, s0, s12
	s_cselect_b32 s0, -1, 0
	s_cmp_ngt_f32 s6, 0x42b17218
	s_delay_alu instid0(VALU_DEP_1) | instskip(SKIP_2) | instid1(VALU_DEP_1)
	v_cndmask_b32_e64 v6, 0, v6, s0
	s_cselect_b32 s0, -1, 0
	s_cmp_ge_f32 s6, 0xc1a00000
	v_cndmask_b32_e64 v8, 0x7f800000, v6, s0
	s_cselect_b32 s0, -1, 0
	v_mov_b32_e32 v6, s13
	s_add_co_i32 s1, s1, -1
	s_add_co_i32 s4, s4, -16
	v_cndmask_b32_e64 v8, 0, v8, s0
	s_cmp_le_i32 s1, s7
	s_mov_b32 s0, s5
	s_wait_loadcnt 0x0
	s_delay_alu instid0(VALU_DEP_1) | instskip(NEXT) | instid1(VALU_DEP_1)
	v_pk_mul_f32 v[6:7], v[6:7], v[8:9] op_sel_hi:[1,0]
	v_pk_fma_f32 v[2:3], v[2:3], v[10:11], v[6:7] op_sel_hi:[1,0,1]
	s_cbranch_scc0 .LBB7_3
	s_branch .LBB7_5
.LBB7_4:
	s_wait_kmcnt 0x0
	v_mov_b32_e32 v2, s15
.LBB7_5:
	v_lshl_add_u64 v[0:1], v[4:5], 2, s[8:9]
	s_wait_loadcnt 0x0
	s_delay_alu instid0(VALU_DEP_2) | instskip(NEXT) | instid1(VALU_DEP_1)
	v_div_scale_f32 v4, null, v2, v2, v3
	v_rcp_f32_e32 v5, v4
	v_nop
	s_delay_alu instid0(TRANS32_DEP_1) | instskip(NEXT) | instid1(VALU_DEP_1)
	v_fma_f32 v6, -v4, v5, 1.0
	v_fmac_f32_e32 v5, v6, v5
	v_div_scale_f32 v6, vcc_lo, v3, v2, v3
	s_delay_alu instid0(VALU_DEP_1) | instskip(NEXT) | instid1(VALU_DEP_1)
	v_mul_f32_e32 v7, v6, v5
	v_fma_f32 v8, -v4, v7, v6
	s_delay_alu instid0(VALU_DEP_1) | instskip(NEXT) | instid1(VALU_DEP_1)
	v_fmac_f32_e32 v7, v8, v5
	v_fma_f32 v4, -v4, v7, v6
	s_delay_alu instid0(VALU_DEP_1) | instskip(NEXT) | instid1(VALU_DEP_1)
	v_div_fmas_f32 v4, v4, v5, v7
	v_div_fixup_f32 v2, v4, v2, v3
	global_store_b32 v[0:1], v2, off
.LBB7_6:
	s_endpgm
	.section	.rodata,"a",@progbits
	.p2align	6, 0x0
	.amdhsa_kernel _ZL33flash_attn_stream_k_fixup_uniformILi128ELi1ELi16EEvPfPK15HIP_vector_typeIfLj2EEiiiiiiS1_IjLj3EES5_S5_
		.amdhsa_group_segment_fixed_size 0
		.amdhsa_private_segment_fixed_size 0
		.amdhsa_kernarg_size 76
		.amdhsa_user_sgpr_count 2
		.amdhsa_user_sgpr_dispatch_ptr 0
		.amdhsa_user_sgpr_queue_ptr 0
		.amdhsa_user_sgpr_kernarg_segment_ptr 1
		.amdhsa_user_sgpr_dispatch_id 0
		.amdhsa_user_sgpr_kernarg_preload_length 0
		.amdhsa_user_sgpr_kernarg_preload_offset 0
		.amdhsa_user_sgpr_private_segment_size 0
		.amdhsa_wavefront_size32 1
		.amdhsa_uses_dynamic_stack 0
		.amdhsa_enable_private_segment 0
		.amdhsa_system_sgpr_workgroup_id_x 1
		.amdhsa_system_sgpr_workgroup_id_y 1
		.amdhsa_system_sgpr_workgroup_id_z 1
		.amdhsa_system_sgpr_workgroup_info 0
		.amdhsa_system_vgpr_workitem_id 0
		.amdhsa_next_free_vgpr 12
		.amdhsa_next_free_sgpr 21
		.amdhsa_named_barrier_count 0
		.amdhsa_reserve_vcc 1
		.amdhsa_float_round_mode_32 0
		.amdhsa_float_round_mode_16_64 0
		.amdhsa_float_denorm_mode_32 3
		.amdhsa_float_denorm_mode_16_64 3
		.amdhsa_fp16_overflow 0
		.amdhsa_memory_ordered 1
		.amdhsa_forward_progress 1
		.amdhsa_inst_pref_size 9
		.amdhsa_round_robin_scheduling 0
		.amdhsa_exception_fp_ieee_invalid_op 0
		.amdhsa_exception_fp_denorm_src 0
		.amdhsa_exception_fp_ieee_div_zero 0
		.amdhsa_exception_fp_ieee_overflow 0
		.amdhsa_exception_fp_ieee_underflow 0
		.amdhsa_exception_fp_ieee_inexact 0
		.amdhsa_exception_int_div_zero 0
	.end_amdhsa_kernel
	.section	.text._ZL33flash_attn_stream_k_fixup_uniformILi128ELi1ELi16EEvPfPK15HIP_vector_typeIfLj2EEiiiiiiS1_IjLj3EES5_S5_,"axG",@progbits,_ZL33flash_attn_stream_k_fixup_uniformILi128ELi1ELi16EEvPfPK15HIP_vector_typeIfLj2EEiiiiiiS1_IjLj3EES5_S5_,comdat
.Lfunc_end7:
	.size	_ZL33flash_attn_stream_k_fixup_uniformILi128ELi1ELi16EEvPfPK15HIP_vector_typeIfLj2EEiiiiiiS1_IjLj3EES5_S5_, .Lfunc_end7-_ZL33flash_attn_stream_k_fixup_uniformILi128ELi1ELi16EEvPfPK15HIP_vector_typeIfLj2EEiiiiiiS1_IjLj3EES5_S5_
                                        ; -- End function
	.set _ZL33flash_attn_stream_k_fixup_uniformILi128ELi1ELi16EEvPfPK15HIP_vector_typeIfLj2EEiiiiiiS1_IjLj3EES5_S5_.num_vgpr, 12
	.set _ZL33flash_attn_stream_k_fixup_uniformILi128ELi1ELi16EEvPfPK15HIP_vector_typeIfLj2EEiiiiiiS1_IjLj3EES5_S5_.num_agpr, 0
	.set _ZL33flash_attn_stream_k_fixup_uniformILi128ELi1ELi16EEvPfPK15HIP_vector_typeIfLj2EEiiiiiiS1_IjLj3EES5_S5_.numbered_sgpr, 21
	.set _ZL33flash_attn_stream_k_fixup_uniformILi128ELi1ELi16EEvPfPK15HIP_vector_typeIfLj2EEiiiiiiS1_IjLj3EES5_S5_.num_named_barrier, 0
	.set _ZL33flash_attn_stream_k_fixup_uniformILi128ELi1ELi16EEvPfPK15HIP_vector_typeIfLj2EEiiiiiiS1_IjLj3EES5_S5_.private_seg_size, 0
	.set _ZL33flash_attn_stream_k_fixup_uniformILi128ELi1ELi16EEvPfPK15HIP_vector_typeIfLj2EEiiiiiiS1_IjLj3EES5_S5_.uses_vcc, 1
	.set _ZL33flash_attn_stream_k_fixup_uniformILi128ELi1ELi16EEvPfPK15HIP_vector_typeIfLj2EEiiiiiiS1_IjLj3EES5_S5_.uses_flat_scratch, 0
	.set _ZL33flash_attn_stream_k_fixup_uniformILi128ELi1ELi16EEvPfPK15HIP_vector_typeIfLj2EEiiiiiiS1_IjLj3EES5_S5_.has_dyn_sized_stack, 0
	.set _ZL33flash_attn_stream_k_fixup_uniformILi128ELi1ELi16EEvPfPK15HIP_vector_typeIfLj2EEiiiiiiS1_IjLj3EES5_S5_.has_recursion, 0
	.set _ZL33flash_attn_stream_k_fixup_uniformILi128ELi1ELi16EEvPfPK15HIP_vector_typeIfLj2EEiiiiiiS1_IjLj3EES5_S5_.has_indirect_call, 0
	.section	.AMDGPU.csdata,"",@progbits
; Kernel info:
; codeLenInByte = 1072
; TotalNumSgprs: 23
; NumVgprs: 12
; ScratchSize: 0
; MemoryBound: 0
; FloatMode: 240
; IeeeMode: 1
; LDSByteSize: 0 bytes/workgroup (compile time only)
; SGPRBlocks: 0
; VGPRBlocks: 0
; NumSGPRsForWavesPerEU: 23
; NumVGPRsForWavesPerEU: 12
; NamedBarCnt: 0
; Occupancy: 16
; WaveLimiterHint : 0
; COMPUTE_PGM_RSRC2:SCRATCH_EN: 0
; COMPUTE_PGM_RSRC2:USER_SGPR: 2
; COMPUTE_PGM_RSRC2:TRAP_HANDLER: 0
; COMPUTE_PGM_RSRC2:TGID_X_EN: 1
; COMPUTE_PGM_RSRC2:TGID_Y_EN: 1
; COMPUTE_PGM_RSRC2:TGID_Z_EN: 1
; COMPUTE_PGM_RSRC2:TIDIG_COMP_CNT: 0
	.section	.text._ZL33flash_attn_stream_k_fixup_generalILi128ELi1ELi16EEvPfPK15HIP_vector_typeIfLj2EEiiiiS1_IjLj3EES5_S5_S5_,"axG",@progbits,_ZL33flash_attn_stream_k_fixup_generalILi128ELi1ELi16EEvPfPK15HIP_vector_typeIfLj2EEiiiiS1_IjLj3EES5_S5_S5_,comdat
	.globl	_ZL33flash_attn_stream_k_fixup_generalILi128ELi1ELi16EEvPfPK15HIP_vector_typeIfLj2EEiiiiS1_IjLj3EES5_S5_S5_ ; -- Begin function _ZL33flash_attn_stream_k_fixup_generalILi128ELi1ELi16EEvPfPK15HIP_vector_typeIfLj2EEiiiiS1_IjLj3EES5_S5_S5_
	.p2align	8
	.type	_ZL33flash_attn_stream_k_fixup_generalILi128ELi1ELi16EEvPfPK15HIP_vector_typeIfLj2EEiiiiS1_IjLj3EES5_S5_S5_,@function
_ZL33flash_attn_stream_k_fixup_generalILi128ELi1ELi16EEvPfPK15HIP_vector_typeIfLj2EEiiiiS1_IjLj3EES5_S5_S5_: ; @_ZL33flash_attn_stream_k_fixup_generalILi128ELi1ELi16EEvPfPK15HIP_vector_typeIfLj2EEiiiiS1_IjLj3EES5_S5_S5_
; %bb.0:
	s_clause 0x1
	s_load_b128 s[4:7], s[0:1], 0x10
	s_load_b32 s16, s[0:1], 0x50
	s_bfe_u32 s2, ttmp6, 0x4000c
	s_and_b32 s3, ttmp6, 15
	s_add_co_i32 s2, s2, 1
	s_getreg_b32 s15, hwreg(HW_REG_IB_STS2, 6, 4)
	s_mul_i32 s2, ttmp9, s2
	s_mov_b32 s17, 0
	s_add_co_i32 s3, s3, s2
	s_cmp_eq_u32 s15, 0
	s_cselect_b32 s2, ttmp9, s3
	s_delay_alu instid0(SALU_CYCLE_1) | instskip(SKIP_3) | instid1(SALU_CYCLE_1)
	s_ashr_i32 s3, s2, 31
	s_wait_kmcnt 0x0
	s_ashr_i32 s19, s7, 31
	s_mov_b32 s18, s7
	s_mul_u64 s[8:9], s[18:19], s[2:3]
	s_delay_alu instid0(SALU_CYCLE_1) | instskip(NEXT) | instid1(SALU_CYCLE_1)
	s_and_b64 s[10:11], s[8:9], 0xffffffff00000000
	s_cmp_lg_u64 s[10:11], 0
	s_cbranch_scc0 .LBB8_21
; %bb.1:
	s_add_nc_u64 s[10:11], s[16:17], 0
	s_mov_b32 s23, s17
	s_xor_b64 s[10:11], s[10:11], 0
	s_mov_b32 s27, s17
	s_cvt_f32_u32 s3, s10
	s_cvt_f32_u32 s7, s11
	s_sub_nc_u64 s[20:21], 0, s[10:11]
	s_delay_alu instid0(SALU_CYCLE_2) | instskip(NEXT) | instid1(SALU_CYCLE_3)
	s_fmamk_f32 s3, s7, 0x4f800000, s3
	v_s_rcp_f32 s3, s3
	s_delay_alu instid0(TRANS32_DEP_1) | instskip(NEXT) | instid1(SALU_CYCLE_3)
	s_mul_f32 s3, s3, 0x5f7ffffc
	s_mul_f32 s7, s3, 0x2f800000
	s_delay_alu instid0(SALU_CYCLE_3) | instskip(NEXT) | instid1(SALU_CYCLE_3)
	s_trunc_f32 s7, s7
	s_fmamk_f32 s3, s7, 0xcf800000, s3
	s_cvt_u32_f32 s13, s7
	s_delay_alu instid0(SALU_CYCLE_2) | instskip(NEXT) | instid1(SALU_CYCLE_3)
	s_cvt_u32_f32 s12, s3
	s_mul_u64 s[24:25], s[20:21], s[12:13]
	s_delay_alu instid0(SALU_CYCLE_1)
	s_mul_hi_u32 s29, s12, s25
	s_mul_i32 s28, s12, s25
	s_mul_hi_u32 s22, s12, s24
	s_mul_i32 s7, s13, s24
	s_add_nc_u64 s[22:23], s[22:23], s[28:29]
	s_mul_hi_u32 s3, s13, s24
	s_mul_hi_u32 s14, s13, s25
	s_add_co_u32 s7, s22, s7
	s_add_co_ci_u32 s26, s23, s3
	s_mul_i32 s24, s13, s25
	s_add_co_ci_u32 s25, s14, 0
	s_delay_alu instid0(SALU_CYCLE_1) | instskip(SKIP_3) | instid1(SALU_CYCLE_1)
	s_add_nc_u64 s[22:23], s[26:27], s[24:25]
	s_mov_b32 s25, s17
	s_add_co_u32 s12, s12, s22
	s_cselect_b32 s3, -1, 0
	s_cmp_lg_u32 s3, 0
	s_add_co_ci_u32 s13, s13, s23
	s_mov_b32 s23, s17
	s_mul_u64 s[20:21], s[20:21], s[12:13]
	s_delay_alu instid0(SALU_CYCLE_1)
	s_mul_hi_u32 s27, s12, s21
	s_mul_i32 s26, s12, s21
	s_mul_hi_u32 s22, s12, s20
	s_mul_i32 s7, s13, s20
	s_add_nc_u64 s[22:23], s[22:23], s[26:27]
	s_mul_hi_u32 s3, s13, s20
	s_mul_hi_u32 s14, s13, s21
	s_add_co_u32 s7, s22, s7
	s_add_co_ci_u32 s24, s23, s3
	s_mul_i32 s20, s13, s21
	s_add_co_ci_u32 s21, s14, 0
	s_mov_b32 s23, s17
	s_add_nc_u64 s[20:21], s[24:25], s[20:21]
	s_delay_alu instid0(SALU_CYCLE_1) | instskip(SKIP_1) | instid1(SALU_CYCLE_1)
	s_add_co_u32 s3, s12, s20
	s_cselect_b32 s7, -1, 0
	s_cmp_lg_u32 s7, 0
	s_add_co_ci_u32 s7, s13, s21
	s_ashr_i32 s12, s9, 31
	s_delay_alu instid0(SALU_CYCLE_1) | instskip(NEXT) | instid1(SALU_CYCLE_1)
	s_mov_b32 s13, s12
	s_add_nc_u64 s[20:21], s[8:9], s[12:13]
	s_delay_alu instid0(SALU_CYCLE_1) | instskip(NEXT) | instid1(SALU_CYCLE_1)
	s_xor_b64 s[20:21], s[20:21], s[12:13]
	s_mul_hi_u32 s27, s20, s7
	s_mul_i32 s26, s20, s7
	s_mul_hi_u32 s22, s20, s3
	s_mul_hi_u32 s14, s21, s3
	s_mul_i32 s3, s21, s3
	s_add_nc_u64 s[22:23], s[22:23], s[26:27]
	s_mul_hi_u32 s9, s21, s7
	s_add_co_u32 s3, s22, s3
	s_add_co_ci_u32 s24, s23, s14
	s_mul_i32 s26, s21, s7
	s_add_co_ci_u32 s27, s9, 0
	s_delay_alu instid0(SALU_CYCLE_1) | instskip(NEXT) | instid1(SALU_CYCLE_1)
	s_add_nc_u64 s[22:23], s[24:25], s[26:27]
	s_and_b64 s[24:25], s[22:23], 0xffffffff00000000
	s_delay_alu instid0(SALU_CYCLE_1) | instskip(NEXT) | instid1(SALU_CYCLE_1)
	s_or_b32 s24, s24, s22
	s_mul_u64 s[22:23], s[10:11], s[24:25]
	s_add_nc_u64 s[26:27], s[24:25], 1
	s_sub_co_u32 s3, s20, s22
	s_cselect_b32 s7, -1, 0
	s_sub_co_i32 s9, s21, s23
	s_cmp_lg_u32 s7, 0
	s_add_nc_u64 s[28:29], s[24:25], 2
	s_sub_co_ci_u32 s9, s9, s11
	s_sub_co_u32 s14, s3, s10
	s_cselect_b32 s20, -1, 0
	s_delay_alu instid0(SALU_CYCLE_1) | instskip(SKIP_1) | instid1(SALU_CYCLE_1)
	s_cmp_lg_u32 s20, 0
	s_sub_co_ci_u32 s9, s9, 0
	s_cmp_ge_u32 s9, s11
	s_cselect_b32 s20, -1, 0
	s_cmp_ge_u32 s14, s10
	s_cselect_b32 s14, -1, 0
	s_cmp_eq_u32 s9, s11
	s_cselect_b32 s9, s14, s20
	s_delay_alu instid0(SALU_CYCLE_1) | instskip(SKIP_4) | instid1(SALU_CYCLE_1)
	s_cmp_lg_u32 s9, 0
	s_cselect_b32 s9, s28, s26
	s_cselect_b32 s14, s29, s27
	s_cmp_lg_u32 s7, 0
	s_sub_co_ci_u32 s7, s21, s23
	s_cmp_ge_u32 s7, s11
	s_cselect_b32 s20, -1, 0
	s_cmp_ge_u32 s3, s10
	s_cselect_b32 s3, -1, 0
	s_cmp_eq_u32 s7, s11
	s_cselect_b32 s3, s3, s20
	s_delay_alu instid0(SALU_CYCLE_1) | instskip(SKIP_4) | instid1(SALU_CYCLE_1)
	s_cmp_lg_u32 s3, 0
	s_mov_b32 s3, s17
	s_cselect_b32 s11, s14, s25
	s_cselect_b32 s10, s9, s24
	s_xor_b64 s[12:13], s[12:13], 0
	s_xor_b64 s[10:11], s[10:11], s[12:13]
	s_delay_alu instid0(SALU_CYCLE_1)
	s_sub_nc_u64 s[20:21], s[10:11], s[12:13]
	s_and_not1_b32 vcc_lo, exec_lo, s3
	s_cbranch_vccnz .LBB8_3
.LBB8_2:
	v_cvt_f32_u32_e32 v1, s16
	s_sub_co_i32 s7, 0, s16
	s_mov_b32 s21, 0
	s_delay_alu instid0(VALU_DEP_1) | instskip(SKIP_1) | instid1(TRANS32_DEP_1)
	v_rcp_iflag_f32_e32 v1, v1
	v_nop
	v_mul_f32_e32 v1, 0x4f7ffffe, v1
	s_delay_alu instid0(VALU_DEP_1) | instskip(NEXT) | instid1(VALU_DEP_1)
	v_cvt_u32_f32_e32 v1, v1
	v_readfirstlane_b32 s3, v1
	s_mul_i32 s7, s7, s3
	s_delay_alu instid0(SALU_CYCLE_1) | instskip(NEXT) | instid1(SALU_CYCLE_1)
	s_mul_hi_u32 s7, s3, s7
	s_add_co_i32 s3, s3, s7
	s_delay_alu instid0(SALU_CYCLE_1) | instskip(NEXT) | instid1(SALU_CYCLE_1)
	s_mul_hi_u32 s3, s8, s3
	s_mul_i32 s7, s3, s16
	s_delay_alu instid0(SALU_CYCLE_1)
	s_sub_co_i32 s7, s8, s7
	s_add_co_i32 s8, s3, 1
	s_sub_co_i32 s9, s7, s16
	s_cmp_ge_u32 s7, s16
	s_cselect_b32 s3, s8, s3
	s_cselect_b32 s7, s9, s7
	s_add_co_i32 s8, s3, 1
	s_cmp_ge_u32 s7, s16
	s_cselect_b32 s20, s8, s3
.LBB8_3:
	s_add_co_i32 s8, s2, 1
	s_delay_alu instid0(SALU_CYCLE_1) | instskip(NEXT) | instid1(SALU_CYCLE_1)
	s_ashr_i32 s9, s8, 31
	s_mul_u64 s[8:9], s[18:19], s[8:9]
	s_delay_alu instid0(SALU_CYCLE_1) | instskip(NEXT) | instid1(SALU_CYCLE_1)
	s_and_b64 s[10:11], s[8:9], 0xffffffff00000000
	s_cmp_lg_u64 s[10:11], 0
	s_cbranch_scc0 .LBB8_22
; %bb.4:
	s_add_nc_u64 s[10:11], s[16:17], 0
	s_delay_alu instid0(SALU_CYCLE_1) | instskip(SKIP_4) | instid1(SALU_CYCLE_2)
	s_xor_b64 s[12:13], s[10:11], 0
	s_mov_b32 s11, 0
	s_cvt_f32_u32 s3, s12
	s_cvt_f32_u32 s7, s13
	s_sub_nc_u64 s[24:25], 0, s[12:13]
	s_fmamk_f32 s3, s7, 0x4f800000, s3
	s_delay_alu instid0(SALU_CYCLE_3) | instskip(NEXT) | instid1(TRANS32_DEP_1)
	v_s_rcp_f32 s3, s3
	s_mul_f32 s3, s3, 0x5f7ffffc
	s_delay_alu instid0(SALU_CYCLE_3) | instskip(NEXT) | instid1(SALU_CYCLE_3)
	s_mul_f32 s7, s3, 0x2f800000
	s_trunc_f32 s7, s7
	s_delay_alu instid0(SALU_CYCLE_3) | instskip(SKIP_1) | instid1(SALU_CYCLE_2)
	s_fmamk_f32 s3, s7, 0xcf800000, s3
	s_cvt_u32_f32 s23, s7
	s_cvt_u32_f32 s22, s3
	s_delay_alu instid0(SALU_CYCLE_3) | instskip(NEXT) | instid1(SALU_CYCLE_1)
	s_mul_u64 s[26:27], s[24:25], s[22:23]
	s_mul_hi_u32 s29, s22, s27
	s_mul_i32 s28, s22, s27
	s_mul_hi_u32 s10, s22, s26
	s_mul_i32 s7, s23, s26
	s_add_nc_u64 s[28:29], s[10:11], s[28:29]
	s_mul_hi_u32 s3, s23, s26
	s_mul_hi_u32 s14, s23, s27
	s_add_co_u32 s7, s28, s7
	s_add_co_ci_u32 s10, s29, s3
	s_mul_i32 s26, s23, s27
	s_add_co_ci_u32 s27, s14, 0
	s_delay_alu instid0(SALU_CYCLE_1) | instskip(NEXT) | instid1(SALU_CYCLE_1)
	s_add_nc_u64 s[26:27], s[10:11], s[26:27]
	s_add_co_u32 s22, s22, s26
	s_cselect_b32 s3, -1, 0
	s_delay_alu instid0(SALU_CYCLE_1) | instskip(SKIP_1) | instid1(SALU_CYCLE_1)
	s_cmp_lg_u32 s3, 0
	s_add_co_ci_u32 s23, s23, s27
	s_mul_u64 s[24:25], s[24:25], s[22:23]
	s_delay_alu instid0(SALU_CYCLE_1)
	s_mul_hi_u32 s27, s22, s25
	s_mul_i32 s26, s22, s25
	s_mul_hi_u32 s10, s22, s24
	s_mul_i32 s7, s23, s24
	s_add_nc_u64 s[26:27], s[10:11], s[26:27]
	s_mul_hi_u32 s3, s23, s24
	s_mul_hi_u32 s14, s23, s25
	s_add_co_u32 s7, s26, s7
	s_add_co_ci_u32 s10, s27, s3
	s_mul_i32 s24, s23, s25
	s_add_co_ci_u32 s25, s14, 0
	s_delay_alu instid0(SALU_CYCLE_1) | instskip(NEXT) | instid1(SALU_CYCLE_1)
	s_add_nc_u64 s[24:25], s[10:11], s[24:25]
	s_add_co_u32 s3, s22, s24
	s_cselect_b32 s7, -1, 0
	s_delay_alu instid0(SALU_CYCLE_1) | instskip(SKIP_2) | instid1(SALU_CYCLE_1)
	s_cmp_lg_u32 s7, 0
	s_add_co_ci_u32 s7, s23, s25
	s_ashr_i32 s22, s9, 31
	s_mov_b32 s23, s22
	s_delay_alu instid0(SALU_CYCLE_1) | instskip(NEXT) | instid1(SALU_CYCLE_1)
	s_add_nc_u64 s[24:25], s[8:9], s[22:23]
	s_xor_b64 s[24:25], s[24:25], s[22:23]
	s_delay_alu instid0(SALU_CYCLE_1)
	s_mul_hi_u32 s27, s24, s7
	s_mul_i32 s26, s24, s7
	s_mul_hi_u32 s10, s24, s3
	s_mul_hi_u32 s14, s25, s3
	s_mul_i32 s3, s25, s3
	s_add_nc_u64 s[26:27], s[10:11], s[26:27]
	s_mul_hi_u32 s9, s25, s7
	s_add_co_u32 s3, s26, s3
	s_add_co_ci_u32 s10, s27, s14
	s_mul_i32 s28, s25, s7
	s_add_co_ci_u32 s29, s9, 0
	s_delay_alu instid0(SALU_CYCLE_1) | instskip(NEXT) | instid1(SALU_CYCLE_1)
	s_add_nc_u64 s[26:27], s[10:11], s[28:29]
	s_and_b64 s[28:29], s[26:27], 0xffffffff00000000
	s_delay_alu instid0(SALU_CYCLE_1) | instskip(NEXT) | instid1(SALU_CYCLE_1)
	s_or_b32 s28, s28, s26
	s_mul_u64 s[26:27], s[12:13], s[28:29]
	s_add_nc_u64 s[30:31], s[28:29], 1
	s_sub_co_u32 s3, s24, s26
	s_cselect_b32 s7, -1, 0
	s_sub_co_i32 s9, s25, s27
	s_cmp_lg_u32 s7, 0
	s_add_nc_u64 s[34:35], s[28:29], 2
	s_sub_co_ci_u32 s9, s9, s13
	s_sub_co_u32 s10, s3, s12
	s_cselect_b32 s14, -1, 0
	s_delay_alu instid0(SALU_CYCLE_1) | instskip(SKIP_1) | instid1(SALU_CYCLE_1)
	s_cmp_lg_u32 s14, 0
	s_sub_co_ci_u32 s9, s9, 0
	s_cmp_ge_u32 s9, s13
	s_cselect_b32 s14, -1, 0
	s_cmp_ge_u32 s10, s12
	s_cselect_b32 s10, -1, 0
	s_cmp_eq_u32 s9, s13
	s_cselect_b32 s9, s10, s14
	s_delay_alu instid0(SALU_CYCLE_1) | instskip(SKIP_4) | instid1(SALU_CYCLE_1)
	s_cmp_lg_u32 s9, 0
	s_cselect_b32 s9, s34, s30
	s_cselect_b32 s10, s35, s31
	s_cmp_lg_u32 s7, 0
	s_sub_co_ci_u32 s7, s25, s27
	s_cmp_ge_u32 s7, s13
	s_cselect_b32 s14, -1, 0
	s_cmp_ge_u32 s3, s12
	s_cselect_b32 s3, -1, 0
	s_cmp_eq_u32 s7, s13
	s_cselect_b32 s3, s3, s14
	s_delay_alu instid0(SALU_CYCLE_1) | instskip(SKIP_3) | instid1(SALU_CYCLE_1)
	s_cmp_lg_u32 s3, 0
	s_cselect_b32 s13, s10, s29
	s_cselect_b32 s12, s9, s28
	s_xor_b64 s[22:23], s[22:23], 0
	s_xor_b64 s[12:13], s[12:13], s[22:23]
	s_delay_alu instid0(SALU_CYCLE_1)
	s_sub_nc_u64 s[24:25], s[12:13], s[22:23]
	s_load_b96 s[12:14], s[0:1], 0x44
	s_cbranch_execnz .LBB8_6
.LBB8_5:
	v_cvt_f32_u32_e32 v1, s16
	s_sub_co_i32 s7, 0, s16
	s_delay_alu instid0(VALU_DEP_1) | instskip(SKIP_1) | instid1(TRANS32_DEP_1)
	v_rcp_iflag_f32_e32 v1, v1
	v_nop
	v_mul_f32_e32 v1, 0x4f7ffffe, v1
	s_delay_alu instid0(VALU_DEP_1) | instskip(NEXT) | instid1(VALU_DEP_1)
	v_cvt_u32_f32_e32 v1, v1
	v_readfirstlane_b32 s3, v1
	s_mul_i32 s7, s7, s3
	s_delay_alu instid0(SALU_CYCLE_1) | instskip(NEXT) | instid1(SALU_CYCLE_1)
	s_mul_hi_u32 s7, s3, s7
	s_add_co_i32 s3, s3, s7
	s_delay_alu instid0(SALU_CYCLE_1) | instskip(NEXT) | instid1(SALU_CYCLE_1)
	s_mul_hi_u32 s3, s8, s3
	s_mul_i32 s7, s3, s16
	s_delay_alu instid0(SALU_CYCLE_1)
	s_sub_co_i32 s7, s8, s7
	s_add_co_i32 s8, s3, 1
	s_sub_co_i32 s9, s7, s16
	s_cmp_ge_u32 s7, s16
	s_cselect_b32 s3, s8, s3
	s_cselect_b32 s7, s9, s7
	s_add_co_i32 s8, s3, 1
	s_cmp_ge_u32 s7, s16
	s_cselect_b32 s24, s8, s3
.LBB8_6:
	s_delay_alu instid0(SALU_CYCLE_1)
	s_cmp_eq_u32 s20, s24
	s_mov_b64 s[8:9], 0xffffffff
	s_cselect_b32 s3, -1, 0
	s_and_b64 s[8:9], s[20:21], s[8:9]
	s_mov_b32 s23, 0
	s_wait_kmcnt 0x0
	s_mov_b32 s22, s12
	s_mov_b32 s25, s23
	s_mul_u64 s[10:11], s[8:9], s[22:23]
	s_delay_alu instid0(SALU_CYCLE_1) | instskip(SKIP_2) | instid1(SALU_CYCLE_1)
	s_add_co_i32 s7, s11, s20
	s_mul_u64 s[10:11], s[24:25], s[22:23]
	s_lshr_b32 s12, s7, s13
	s_mul_i32 s7, s12, s14
	s_delay_alu instid0(SALU_CYCLE_1) | instskip(SKIP_2) | instid1(SALU_CYCLE_1)
	s_cmp_eq_u32 s7, s20
	s_cselect_b32 s7, -1, 0
	s_add_co_i32 s10, s11, s24
	s_lshr_b32 s10, s10, s13
	s_delay_alu instid0(SALU_CYCLE_1)
	s_cmp_eq_u32 s12, s10
	s_mul_i32 s10, s10, s14
	s_cselect_b32 s11, -1, 0
	s_cmp_lg_u32 s10, s24
	s_cselect_b32 s10, -1, 0
	s_or_b32 s3, s3, s7
	s_and_b32 s10, s11, s10
	s_delay_alu instid0(SALU_CYCLE_1) | instskip(NEXT) | instid1(SALU_CYCLE_1)
	s_or_b32 s3, s3, s10
	s_and_b32 vcc_lo, exec_lo, s3
	s_cbranch_vccnz .LBB8_24
; %bb.7:
	s_load_b256 s[24:31], s[0:1], 0x20
	s_bfe_u32 s7, ttmp6, 0x40014
	s_bfe_u32 s33, ttmp6, 0x40010
	s_lshr_b32 s3, ttmp7, 16
	s_add_co_i32 s7, s7, 1
	s_and_b32 s21, ttmp7, 0xffff
	s_add_co_i32 s33, s33, 1
	s_bfe_u32 s10, ttmp6, 0x40008
	s_mul_i32 s7, s3, s7
	s_bfe_u32 s34, ttmp6, 0x40004
	s_mul_i32 s33, s21, s33
	s_mov_b32 s11, s23
	s_add_co_i32 s7, s10, s7
	s_add_co_i32 s34, s34, s33
	s_cmp_eq_u32 s15, 0
	s_cselect_b32 s15, s21, s34
	s_cselect_b32 s21, s3, s7
	s_wait_kmcnt 0x0
	s_mov_b32 s10, s24
	s_delay_alu instid0(SALU_CYCLE_1) | instskip(SKIP_2) | instid1(SALU_CYCLE_1)
	s_mul_u64 s[8:9], s[8:9], s[10:11]
	s_load_b32 s8, s[0:1], 0x40
	s_add_co_i32 s3, s9, s20
	s_lshr_b32 s3, s3, s25
	s_delay_alu instid0(SALU_CYCLE_1) | instskip(NEXT) | instid1(SALU_CYCLE_1)
	s_mul_i32 s7, s3, s26
	s_sub_co_i32 s9, s20, s7
	s_delay_alu instid0(SALU_CYCLE_1) | instskip(NEXT) | instid1(SALU_CYCLE_1)
	s_mul_hi_u32 s7, s9, s27
	s_add_co_i32 s7, s9, s7
	s_delay_alu instid0(SALU_CYCLE_1) | instskip(NEXT) | instid1(SALU_CYCLE_1)
	s_lshr_b32 s7, s7, s28
	s_mul_i32 s10, s7, s29
	s_delay_alu instid0(SALU_CYCLE_1) | instskip(NEXT) | instid1(SALU_CYCLE_1)
	s_sub_co_i32 s10, s9, s10
	s_mul_hi_u32 s9, s10, s30
	s_delay_alu instid0(SALU_CYCLE_1) | instskip(NEXT) | instid1(SALU_CYCLE_1)
	s_add_co_i32 s9, s10, s9
	s_lshr_b32 s25, s9, s31
	s_mov_b32 s9, s23
	s_wait_kmcnt 0x0
	s_mul_i32 s8, s25, s8
	s_lshl_b32 s25, s25, 4
	s_sub_co_i32 s8, s10, s8
	s_delay_alu instid0(SALU_CYCLE_1) | instskip(NEXT) | instid1(SALU_CYCLE_1)
	s_mul_u64 s[10:11], s[8:9], s[22:23]
	s_add_co_i32 s8, s8, s11
	s_delay_alu instid0(SALU_CYCLE_1) | instskip(NEXT) | instid1(SALU_CYCLE_1)
	s_lshr_b32 s24, s8, s13
	s_add_co_i32 s24, s24, s15
	s_delay_alu instid0(SALU_CYCLE_1) | instskip(SKIP_2) | instid1(SALU_CYCLE_1)
	s_cmp_lt_i32 s24, s4
	s_cselect_b32 s8, -1, 0
	s_add_co_i32 s25, s25, s21
	s_cmp_lt_i32 s25, s6
	s_cselect_b32 s9, -1, 0
	s_delay_alu instid0(SALU_CYCLE_1) | instskip(NEXT) | instid1(SALU_CYCLE_1)
	s_and_b32 s8, s8, s9
	s_and_not1_b32 vcc_lo, exec_lo, s8
	s_cbranch_vccnz .LBB8_24
; %bb.8:
	s_load_b128 s[8:11], s[0:1], 0x0
	s_mul_i32 s3, s3, s4
	s_mul_i32 s7, s7, s6
	s_wait_xcnt 0x0
	s_add_co_i32 s0, s24, s3
	s_add_co_i32 s1, s25, s7
	s_mul_i32 s0, s0, s5
	s_add_co_i32 s3, s15, s2
	s_add_co_i32 s1, s1, s0
	v_cvt_f32_u32_e32 v4, s16
	v_lshl_or_b32 v2, s1, 7, v0
	s_add_nc_u64 s[0:1], s[16:17], 0
	s_lshl_b32 s24, s16, 6
	s_xor_b64 s[6:7], s[0:1], 0
	s_lshl_b32 s0, s3, 4
	s_cvt_f32_u32 s3, s6
	s_cvt_f32_u32 s4, s7
	s_add_co_i32 s0, s0, s21
	v_rcp_iflag_f32_e32 v4, v4
	s_ashr_i32 s1, s0, 31
	s_fmamk_f32 s3, s4, 0x4f800000, s3
	s_wait_kmcnt 0x0
	global_load_b32 v1, v2, s[8:9] scale_offset
	s_lshl_b64 s[0:1], s[0:1], 3
	s_mov_b32 s25, 0
	v_s_rcp_f32 s3, s3
	s_add_nc_u64 s[0:1], s[10:11], s[0:1]
	v_dual_mul_f32 v4, 0x4f7ffffe, v4 :: v_dual_ashrrev_i32 v3, 31, v2
	s_load_b64 s[28:29], s[0:1], 0x0
	s_wait_xcnt 0x0
	s_lshl_b64 s[0:1], s[24:25], 2
	v_lshl_or_b32 v6, s21, 7, v0
	s_add_nc_u64 s[26:27], s[10:11], s[0:1]
	s_mul_f32 s3, s3, 0x5f7ffffc
	v_lshl_add_u64 v[2:3], v[2:3], 2, s[8:9]
	v_cvt_u32_f32_e32 v7, v4
	s_mov_b64 s[8:9], 0xffffffff
	s_mul_f32 s4, s3, 0x2f800000
	s_add_co_i32 s36, s2, -1
	s_sub_nc_u64 s[34:35], 0, s[6:7]
	s_delay_alu instid0(SALU_CYCLE_1) | instskip(NEXT) | instid1(SALU_CYCLE_3)
	s_trunc_f32 s4, s4
	s_fmamk_f32 s0, s4, 0xcf800000, s3
	s_cvt_u32_f32 s31, s4
	s_wait_kmcnt 0x0
	v_mov_b32_e32 v0, s29
	s_cvt_u32_f32 s30, s0
.LBB8_9:                                ; =>This Inner Loop Header: Depth=1
	s_ashr_i32 s37, s36, 31
                                        ; implicit-def: $sgpr40_sgpr41
	s_delay_alu instid0(SALU_CYCLE_1) | instskip(NEXT) | instid1(SALU_CYCLE_1)
	s_mul_u64 s[0:1], s[36:37], s[18:19]
	s_and_b64 s[2:3], s[0:1], 0xffffffff00000000
	s_delay_alu instid0(SALU_CYCLE_1)
	s_cmp_lg_u64 s[2:3], 0
	s_mov_b32 s2, -1
	s_cbranch_scc0 .LBB8_11
; %bb.10:                               ;   in Loop: Header=BB8_9 Depth=1
	s_mul_u64 s[2:3], s[34:35], s[30:31]
	s_delay_alu instid0(SALU_CYCLE_1)
	s_mul_hi_u32 s5, s30, s3
	s_mul_i32 s4, s30, s3
	s_mul_hi_u32 s24, s30, s2
	s_mul_hi_u32 s17, s31, s2
	s_add_nc_u64 s[4:5], s[24:25], s[4:5]
	s_mul_i32 s2, s31, s2
	s_mul_hi_u32 s29, s31, s3
	s_add_co_u32 s2, s4, s2
	s_add_co_ci_u32 s24, s5, s17
	s_add_co_ci_u32 s5, s29, 0
	s_mul_i32 s4, s31, s3
	s_delay_alu instid0(SALU_CYCLE_1) | instskip(NEXT) | instid1(SALU_CYCLE_1)
	s_add_nc_u64 s[2:3], s[24:25], s[4:5]
	s_add_co_u32 s2, s30, s2
	s_cselect_b32 s4, -1, 0
	s_delay_alu instid0(SALU_CYCLE_1) | instskip(SKIP_1) | instid1(SALU_CYCLE_1)
	s_cmp_lg_u32 s4, 0
	s_add_co_ci_u32 s3, s31, s3
	s_mul_u64 s[4:5], s[34:35], s[2:3]
	s_delay_alu instid0(SALU_CYCLE_1)
	s_mul_hi_u32 s39, s2, s5
	s_mul_i32 s38, s2, s5
	s_mul_hi_u32 s24, s2, s4
	s_mul_hi_u32 s17, s3, s4
	s_mul_i32 s4, s3, s4
	s_add_nc_u64 s[38:39], s[24:25], s[38:39]
	s_mul_hi_u32 s29, s3, s5
	s_add_co_u32 s4, s38, s4
	s_add_co_ci_u32 s24, s39, s17
	s_mul_i32 s4, s3, s5
	s_add_co_ci_u32 s5, s29, 0
	s_delay_alu instid0(SALU_CYCLE_1) | instskip(NEXT) | instid1(SALU_CYCLE_1)
	s_add_nc_u64 s[4:5], s[24:25], s[4:5]
	s_add_co_u32 s17, s2, s4
	s_cselect_b32 s2, -1, 0
	s_delay_alu instid0(SALU_CYCLE_1) | instskip(SKIP_2) | instid1(SALU_CYCLE_1)
	s_cmp_lg_u32 s2, 0
	s_add_co_ci_u32 s29, s3, s5
	s_ashr_i32 s2, s1, 31
	s_mov_b32 s3, s2
	s_delay_alu instid0(SALU_CYCLE_1) | instskip(NEXT) | instid1(SALU_CYCLE_1)
	s_add_nc_u64 s[4:5], s[0:1], s[2:3]
	s_xor_b64 s[4:5], s[4:5], s[2:3]
	s_delay_alu instid0(SALU_CYCLE_1)
	s_mul_hi_u32 s39, s4, s29
	s_mul_i32 s38, s4, s29
	s_mul_hi_u32 s24, s4, s17
	s_mul_hi_u32 s33, s5, s17
	s_mul_i32 s17, s5, s17
	s_add_nc_u64 s[38:39], s[24:25], s[38:39]
	s_mul_hi_u32 s1, s5, s29
	s_add_co_u32 s17, s38, s17
	s_add_co_ci_u32 s24, s39, s33
	s_mul_i32 s40, s5, s29
	s_add_co_ci_u32 s41, s1, 0
	s_delay_alu instid0(SALU_CYCLE_1) | instskip(NEXT) | instid1(SALU_CYCLE_1)
	s_add_nc_u64 s[38:39], s[24:25], s[40:41]
	s_and_b64 s[40:41], s[38:39], 0xffffffff00000000
	s_delay_alu instid0(SALU_CYCLE_1) | instskip(NEXT) | instid1(SALU_CYCLE_1)
	s_or_b32 s40, s40, s38
	s_mul_u64 s[38:39], s[6:7], s[40:41]
	s_add_nc_u64 s[42:43], s[40:41], 1
	s_sub_co_u32 s1, s4, s38
	s_cselect_b32 s4, -1, 0
	s_sub_co_i32 s17, s5, s39
	s_cmp_lg_u32 s4, 0
	s_add_nc_u64 s[44:45], s[40:41], 2
	s_sub_co_ci_u32 s17, s17, s7
	s_sub_co_u32 s24, s1, s6
	s_cselect_b32 s29, -1, 0
	s_delay_alu instid0(SALU_CYCLE_1) | instskip(SKIP_1) | instid1(SALU_CYCLE_1)
	s_cmp_lg_u32 s29, 0
	s_sub_co_ci_u32 s17, s17, 0
	s_cmp_ge_u32 s17, s7
	s_cselect_b32 s29, -1, 0
	s_cmp_ge_u32 s24, s6
	s_cselect_b32 s24, -1, 0
	s_cmp_eq_u32 s17, s7
	s_cselect_b32 s17, s24, s29
	s_delay_alu instid0(SALU_CYCLE_1) | instskip(SKIP_4) | instid1(SALU_CYCLE_1)
	s_cmp_lg_u32 s17, 0
	s_cselect_b32 s17, s44, s42
	s_cselect_b32 s24, s45, s43
	s_cmp_lg_u32 s4, 0
	s_sub_co_ci_u32 s4, s5, s39
	s_cmp_ge_u32 s4, s7
	s_cselect_b32 s5, -1, 0
	s_cmp_ge_u32 s1, s6
	s_cselect_b32 s1, -1, 0
	s_cmp_eq_u32 s4, s7
	s_cselect_b32 s1, s1, s5
	s_delay_alu instid0(SALU_CYCLE_1) | instskip(SKIP_3) | instid1(SALU_CYCLE_1)
	s_cmp_lg_u32 s1, 0
	s_cselect_b32 s5, s24, s41
	s_cselect_b32 s4, s17, s40
	s_xor_b64 s[2:3], s[2:3], 0
	s_xor_b64 s[4:5], s[4:5], s[2:3]
	s_delay_alu instid0(SALU_CYCLE_1)
	s_sub_nc_u64 s[40:41], s[4:5], s[2:3]
	s_mov_b32 s2, 0
.LBB8_11:                               ;   in Loop: Header=BB8_9 Depth=1
	s_delay_alu instid0(SALU_CYCLE_1)
	s_and_not1_b32 vcc_lo, exec_lo, s2
	s_cbranch_vccnz .LBB8_13
; %bb.12:                               ;   in Loop: Header=BB8_9 Depth=1
	v_readfirstlane_b32 s1, v7
	s_sub_co_i32 s2, 0, s16
	s_delay_alu instid0(SALU_CYCLE_1) | instskip(NEXT) | instid1(SALU_CYCLE_1)
	s_mul_i32 s2, s2, s1
	s_mul_hi_u32 s2, s1, s2
	s_delay_alu instid0(SALU_CYCLE_1) | instskip(NEXT) | instid1(SALU_CYCLE_1)
	s_add_co_i32 s1, s1, s2
	s_mul_hi_u32 s1, s0, s1
	s_delay_alu instid0(SALU_CYCLE_1) | instskip(NEXT) | instid1(SALU_CYCLE_1)
	s_mul_i32 s2, s1, s16
	s_sub_co_i32 s0, s0, s2
	s_add_co_i32 s2, s1, 1
	s_sub_co_i32 s3, s0, s16
	s_cmp_ge_u32 s0, s16
	s_cselect_b32 s1, s2, s1
	s_cselect_b32 s0, s3, s0
	s_add_co_i32 s2, s1, 1
	s_cmp_ge_u32 s0, s16
	s_cselect_b32 s24, s2, s1
	s_delay_alu instid0(SALU_CYCLE_1)
	s_mov_b64 s[40:41], s[24:25]
.LBB8_13:                               ;   in Loop: Header=BB8_9 Depth=1
	s_delay_alu instid0(SALU_CYCLE_1)
	s_cmp_lg_u32 s20, s40
	s_mov_b32 s0, -1
                                        ; implicit-def: $vgpr4_vgpr5
                                        ; implicit-def: $sgpr29
                                        ; implicit-def: $sgpr17
                                        ; implicit-def: $sgpr24
                                        ; implicit-def: $sgpr33
	s_cbranch_scc0 .LBB8_18
; %bb.14:                               ;   in Loop: Header=BB8_9 Depth=1
	s_add_co_i32 s42, s36, s15
	v_max_num_f32_e64 v4, s28, s28
	s_add_co_i32 s0, s42, s16
	s_mov_b32 s33, s20
	s_lshl_b32 s0, s0, 4
	s_delay_alu instid0(SALU_CYCLE_1)
	s_add_co_i32 s0, s0, s21
	s_load_b64 s[38:39], s[10:11], s0 offset:0x0 scale_offset
	s_wait_xcnt 0x0
	v_readfirstlane_b32 s0, v4
	s_wait_kmcnt 0x0
	v_max_num_f32_e64 v5, s38, s38
	s_delay_alu instid0(VALU_DEP_1) | instskip(SKIP_1) | instid1(SALU_CYCLE_3)
	v_readfirstlane_b32 s1, v5
	s_max_num_f32 s17, s0, s1
	s_sub_f32 s37, s28, s17
	s_sub_f32 s38, s38, s17
	s_delay_alu instid0(SALU_CYCLE_2)
	s_cmp_nlt_f32 s37, 0xc2ce8ed0
	s_cselect_b32 s1, -1, 0
	s_cmp_ngt_f32 s37, 0x42b17218
	s_cselect_b32 s2, -1, 0
	s_cmp_ge_f32 s37, 0xc1a00000
	s_cselect_b32 s0, -1, 0
	s_cmp_nlt_f32 s38, 0xc2ce8ed0
	s_cselect_b32 s3, -1, 0
	s_cmp_ngt_f32 s38, 0x42b17218
	s_cselect_b32 s4, -1, 0
	s_cmp_ge_f32 s38, 0xc1a00000
	s_cselect_b32 s5, -1, 0
	s_and_b64 s[44:45], s[40:41], s[8:9]
	s_delay_alu instid0(SALU_CYCLE_1) | instskip(NEXT) | instid1(SALU_CYCLE_1)
	s_mul_u64 s[44:45], s[44:45], s[22:23]
	s_add_co_i32 s24, s45, s40
	s_delay_alu instid0(SALU_CYCLE_1) | instskip(NEXT) | instid1(SALU_CYCLE_1)
	s_lshr_b32 s24, s24, s13
	s_mul_i32 s29, s24, s14
	s_delay_alu instid0(SALU_CYCLE_1) | instskip(SKIP_3) | instid1(SALU_CYCLE_1)
	s_cmp_eq_u32 s29, s40
	s_cselect_b32 s29, -1, 0
	s_cmp_lt_u32 s24, s12
	s_cselect_b32 s24, -1, 0
	s_or_b32 s24, s24, s29
	s_mov_b32 s29, -1
	s_and_b32 vcc_lo, exec_lo, s24
	s_mov_b32 s24, s36
	s_cbranch_vccnz .LBB8_16
; %bb.15:                               ;   in Loop: Header=BB8_9 Depth=1
	s_add_co_i32 s24, s36, -1
	s_mov_b32 s29, 0
	s_mov_b32 s33, s40
.LBB8_16:                               ;   in Loop: Header=BB8_9 Depth=1
	v_lshl_add_u32 v4, s42, 11, v6
	s_mul_f32 s41, s37, 0x3fb8aa3b
	s_mul_f32 s40, s38, 0x3fb8aa3b
	s_delay_alu instid0(SALU_CYCLE_2)
	s_xor_b32 s43, s41, 0x80000000
	global_load_b32 v5, v4, s[26:27] scale_offset
	s_fmamk_f32 s43, s37, 0x3fb8aa3b, s43
	s_rndne_f32 s45, s41
	s_xor_b32 s42, s40, 0x80000000
	s_rndne_f32 s44, s40
	s_fmamk_f32 s37, s37, 0x32a5705f, s43
	s_sub_f32 s41, s41, s45
	s_fmamk_f32 s42, s38, 0x3fb8aa3b, s42
	s_sub_f32 s40, s40, s44
	s_delay_alu instid0(SALU_CYCLE_1) | instskip(NEXT) | instid1(SALU_CYCLE_1)
	s_add_f32 s37, s41, s37
	s_fmamk_f32 s38, s38, 0x32a5705f, s42
	s_cvt_i32_f32 s41, s45
	s_delay_alu instid0(SALU_CYCLE_1) | instskip(NEXT) | instid1(SALU_CYCLE_1)
	v_s_exp_f32 s37, s37
	s_add_f32 s38, s40, s38
	s_cvt_i32_f32 s40, s44
	s_delay_alu instid0(SALU_CYCLE_2) | instskip(NEXT) | instid1(TRANS32_DEP_2)
	v_s_exp_f32 s38, s38
	v_ldexp_f32 v8, s37, s41
	s_wait_xcnt 0x0
	s_delay_alu instid0(TRANS32_DEP_1) | instskip(NEXT) | instid1(VALU_DEP_2)
	v_ldexp_f32 v4, s38, s40
	v_cndmask_b32_e64 v8, 0, v8, s1
	s_delay_alu instid0(VALU_DEP_1) | instskip(NEXT) | instid1(VALU_DEP_1)
	v_cndmask_b32_e64 v9, 0x7f800000, v8, s2
	v_dual_cndmask_b32 v4, 0, v4, s3 :: v_dual_cndmask_b32 v10, 0, v9, s0
	s_delay_alu instid0(VALU_DEP_1) | instskip(NEXT) | instid1(VALU_DEP_1)
	v_cndmask_b32_e64 v4, 0x7f800000, v4, s4
	v_dual_cndmask_b32 v8, 0, v4, s5 :: v_dual_mov_b32 v4, s39
	s_wait_loadcnt 0x0
	s_delay_alu instid0(VALU_DEP_1) | instskip(NEXT) | instid1(VALU_DEP_1)
	v_pk_mul_f32 v[4:5], v[4:5], v[8:9] op_sel_hi:[1,0]
	v_pk_fma_f32 v[4:5], v[0:1], v[10:11], v[4:5] op_sel_hi:[1,0,1]
	s_cbranch_execz .LBB8_19
.LBB8_17:                               ;   in Loop: Header=BB8_9 Depth=1
	s_and_not1_b32 vcc_lo, exec_lo, s29
	s_cbranch_vccnz .LBB8_20
	s_branch .LBB8_23
.LBB8_18:                               ;   in Loop: Header=BB8_9 Depth=1
	s_and_not1_b32 vcc_lo, exec_lo, s0
	s_cbranch_vccnz .LBB8_17
.LBB8_19:                               ;   in Loop: Header=BB8_9 Depth=1
	s_wait_loadcnt 0x0
	v_mov_b64_e32 v[4:5], v[0:1]
	s_add_co_i32 s24, s36, -1
	s_mov_b32 s33, s20
	s_mov_b32 s17, s28
	s_cbranch_execz .LBB8_23
.LBB8_20:                               ;   in Loop: Header=BB8_9 Depth=1
	s_wait_loadcnt 0x0
	s_delay_alu instid0(VALU_DEP_1)
	v_mov_b64_e32 v[0:1], v[4:5]
	s_mov_b32 s20, s33
	s_mov_b32 s36, s24
	s_mov_b32 s28, s17
	s_branch .LBB8_9
.LBB8_21:
                                        ; implicit-def: $sgpr20_sgpr21
	s_branch .LBB8_2
.LBB8_22:
                                        ; implicit-def: $sgpr24_sgpr25
	s_load_b96 s[12:14], s[0:1], 0x44
	s_branch .LBB8_5
.LBB8_23:
	s_delay_alu instid0(VALU_DEP_1) | instskip(SKIP_1) | instid1(VALU_DEP_1)
	v_div_scale_f32 v0, null, v4, v4, v5
	s_wait_loadcnt 0x0
	v_rcp_f32_e32 v1, v0
	v_nop
	s_delay_alu instid0(TRANS32_DEP_1) | instskip(NEXT) | instid1(VALU_DEP_1)
	v_fma_f32 v6, -v0, v1, 1.0
	v_fmac_f32_e32 v1, v6, v1
	v_div_scale_f32 v6, vcc_lo, v5, v4, v5
	s_delay_alu instid0(VALU_DEP_1) | instskip(NEXT) | instid1(VALU_DEP_1)
	v_mul_f32_e32 v7, v6, v1
	v_fma_f32 v8, -v0, v7, v6
	s_delay_alu instid0(VALU_DEP_1) | instskip(NEXT) | instid1(VALU_DEP_1)
	v_fmac_f32_e32 v7, v8, v1
	v_fma_f32 v0, -v0, v7, v6
	s_delay_alu instid0(VALU_DEP_1) | instskip(NEXT) | instid1(VALU_DEP_1)
	v_div_fmas_f32 v0, v0, v1, v7
	v_div_fixup_f32 v0, v0, v4, v5
	global_store_b32 v[2:3], v0, off
.LBB8_24:
	s_endpgm
	.section	.rodata,"a",@progbits
	.p2align	6, 0x0
	.amdhsa_kernel _ZL33flash_attn_stream_k_fixup_generalILi128ELi1ELi16EEvPfPK15HIP_vector_typeIfLj2EEiiiiS1_IjLj3EES5_S5_S5_
		.amdhsa_group_segment_fixed_size 0
		.amdhsa_private_segment_fixed_size 0
		.amdhsa_kernarg_size 336
		.amdhsa_user_sgpr_count 2
		.amdhsa_user_sgpr_dispatch_ptr 0
		.amdhsa_user_sgpr_queue_ptr 0
		.amdhsa_user_sgpr_kernarg_segment_ptr 1
		.amdhsa_user_sgpr_dispatch_id 0
		.amdhsa_user_sgpr_kernarg_preload_length 0
		.amdhsa_user_sgpr_kernarg_preload_offset 0
		.amdhsa_user_sgpr_private_segment_size 0
		.amdhsa_wavefront_size32 1
		.amdhsa_uses_dynamic_stack 0
		.amdhsa_enable_private_segment 0
		.amdhsa_system_sgpr_workgroup_id_x 1
		.amdhsa_system_sgpr_workgroup_id_y 1
		.amdhsa_system_sgpr_workgroup_id_z 1
		.amdhsa_system_sgpr_workgroup_info 0
		.amdhsa_system_vgpr_workitem_id 0
		.amdhsa_next_free_vgpr 12
		.amdhsa_next_free_sgpr 46
		.amdhsa_named_barrier_count 0
		.amdhsa_reserve_vcc 1
		.amdhsa_float_round_mode_32 0
		.amdhsa_float_round_mode_16_64 0
		.amdhsa_float_denorm_mode_32 3
		.amdhsa_float_denorm_mode_16_64 3
		.amdhsa_fp16_overflow 0
		.amdhsa_memory_ordered 1
		.amdhsa_forward_progress 1
		.amdhsa_inst_pref_size 26
		.amdhsa_round_robin_scheduling 0
		.amdhsa_exception_fp_ieee_invalid_op 0
		.amdhsa_exception_fp_denorm_src 0
		.amdhsa_exception_fp_ieee_div_zero 0
		.amdhsa_exception_fp_ieee_overflow 0
		.amdhsa_exception_fp_ieee_underflow 0
		.amdhsa_exception_fp_ieee_inexact 0
		.amdhsa_exception_int_div_zero 0
	.end_amdhsa_kernel
	.section	.text._ZL33flash_attn_stream_k_fixup_generalILi128ELi1ELi16EEvPfPK15HIP_vector_typeIfLj2EEiiiiS1_IjLj3EES5_S5_S5_,"axG",@progbits,_ZL33flash_attn_stream_k_fixup_generalILi128ELi1ELi16EEvPfPK15HIP_vector_typeIfLj2EEiiiiS1_IjLj3EES5_S5_S5_,comdat
.Lfunc_end8:
	.size	_ZL33flash_attn_stream_k_fixup_generalILi128ELi1ELi16EEvPfPK15HIP_vector_typeIfLj2EEiiiiS1_IjLj3EES5_S5_S5_, .Lfunc_end8-_ZL33flash_attn_stream_k_fixup_generalILi128ELi1ELi16EEvPfPK15HIP_vector_typeIfLj2EEiiiiS1_IjLj3EES5_S5_S5_
                                        ; -- End function
	.set _ZL33flash_attn_stream_k_fixup_generalILi128ELi1ELi16EEvPfPK15HIP_vector_typeIfLj2EEiiiiS1_IjLj3EES5_S5_S5_.num_vgpr, 12
	.set _ZL33flash_attn_stream_k_fixup_generalILi128ELi1ELi16EEvPfPK15HIP_vector_typeIfLj2EEiiiiS1_IjLj3EES5_S5_S5_.num_agpr, 0
	.set _ZL33flash_attn_stream_k_fixup_generalILi128ELi1ELi16EEvPfPK15HIP_vector_typeIfLj2EEiiiiS1_IjLj3EES5_S5_S5_.numbered_sgpr, 46
	.set _ZL33flash_attn_stream_k_fixup_generalILi128ELi1ELi16EEvPfPK15HIP_vector_typeIfLj2EEiiiiS1_IjLj3EES5_S5_S5_.num_named_barrier, 0
	.set _ZL33flash_attn_stream_k_fixup_generalILi128ELi1ELi16EEvPfPK15HIP_vector_typeIfLj2EEiiiiS1_IjLj3EES5_S5_S5_.private_seg_size, 0
	.set _ZL33flash_attn_stream_k_fixup_generalILi128ELi1ELi16EEvPfPK15HIP_vector_typeIfLj2EEiiiiS1_IjLj3EES5_S5_S5_.uses_vcc, 1
	.set _ZL33flash_attn_stream_k_fixup_generalILi128ELi1ELi16EEvPfPK15HIP_vector_typeIfLj2EEiiiiS1_IjLj3EES5_S5_S5_.uses_flat_scratch, 0
	.set _ZL33flash_attn_stream_k_fixup_generalILi128ELi1ELi16EEvPfPK15HIP_vector_typeIfLj2EEiiiiS1_IjLj3EES5_S5_S5_.has_dyn_sized_stack, 0
	.set _ZL33flash_attn_stream_k_fixup_generalILi128ELi1ELi16EEvPfPK15HIP_vector_typeIfLj2EEiiiiS1_IjLj3EES5_S5_S5_.has_recursion, 0
	.set _ZL33flash_attn_stream_k_fixup_generalILi128ELi1ELi16EEvPfPK15HIP_vector_typeIfLj2EEiiiiS1_IjLj3EES5_S5_S5_.has_indirect_call, 0
	.section	.AMDGPU.csdata,"",@progbits
; Kernel info:
; codeLenInByte = 3328
; TotalNumSgprs: 48
; NumVgprs: 12
; ScratchSize: 0
; MemoryBound: 0
; FloatMode: 240
; IeeeMode: 1
; LDSByteSize: 0 bytes/workgroup (compile time only)
; SGPRBlocks: 0
; VGPRBlocks: 0
; NumSGPRsForWavesPerEU: 48
; NumVGPRsForWavesPerEU: 12
; NamedBarCnt: 0
; Occupancy: 16
; WaveLimiterHint : 0
; COMPUTE_PGM_RSRC2:SCRATCH_EN: 0
; COMPUTE_PGM_RSRC2:USER_SGPR: 2
; COMPUTE_PGM_RSRC2:TRAP_HANDLER: 0
; COMPUTE_PGM_RSRC2:TGID_X_EN: 1
; COMPUTE_PGM_RSRC2:TGID_Y_EN: 1
; COMPUTE_PGM_RSRC2:TGID_Z_EN: 1
; COMPUTE_PGM_RSRC2:TIDIG_COMP_CNT: 0
	.section	.text._ZL15flash_attn_tileILi192ELi128ELi4ELi8ELb0EEvPKcS1_S1_S1_S1_PKiPfP15HIP_vector_typeIfLj2EEffffjfiS5_IjLj3EEiiiiiiiiiiiliiliiiiil,"axG",@progbits,_ZL15flash_attn_tileILi192ELi128ELi4ELi8ELb0EEvPKcS1_S1_S1_S1_PKiPfP15HIP_vector_typeIfLj2EEffffjfiS5_IjLj3EEiiiiiiiiiiiliiliiiiil,comdat
	.globl	_ZL15flash_attn_tileILi192ELi128ELi4ELi8ELb0EEvPKcS1_S1_S1_S1_PKiPfP15HIP_vector_typeIfLj2EEffffjfiS5_IjLj3EEiiiiiiiiiiiliiliiiiil ; -- Begin function _ZL15flash_attn_tileILi192ELi128ELi4ELi8ELb0EEvPKcS1_S1_S1_S1_PKiPfP15HIP_vector_typeIfLj2EEffffjfiS5_IjLj3EEiiiiiiiiiiiliiliiiiil
	.p2align	8
	.type	_ZL15flash_attn_tileILi192ELi128ELi4ELi8ELb0EEvPKcS1_S1_S1_S1_PKiPfP15HIP_vector_typeIfLj2EEffffjfiS5_IjLj3EEiiiiiiiiiiiliiliiiiil,@function
_ZL15flash_attn_tileILi192ELi128ELi4ELi8ELb0EEvPKcS1_S1_S1_S1_PKiPfP15HIP_vector_typeIfLj2EEffffjfiS5_IjLj3EEiiiiiiiiiiiliiliiiiil: ; @_ZL15flash_attn_tileILi192ELi128ELi4ELi8ELb0EEvPKcS1_S1_S1_S1_PKiPfP15HIP_vector_typeIfLj2EEffffjfiS5_IjLj3EEiiiiiiiiiiiliiliiiiil
; %bb.0:
	s_clause 0x1
	s_load_b128 s[20:23], s[0:1], 0x5c
	s_load_b64 s[30:31], s[0:1], 0x80
	s_bfe_u32 s5, ttmp6, 0x40014
	s_lshr_b32 s4, ttmp7, 16
	s_add_co_i32 s5, s5, 1
	s_bfe_u32 s6, ttmp6, 0x40008
	s_mul_i32 s5, s4, s5
	s_getreg_b32 s24, hwreg(HW_REG_IB_STS2, 6, 4)
	s_add_co_i32 s6, s6, s5
	s_load_b64 s[36:37], s[0:1], 0xb8
	s_mov_b64 s[34:35], 0
	s_wait_kmcnt 0x0
	s_ashr_i32 s2, s23, 31
	s_delay_alu instid0(SALU_CYCLE_1) | instskip(NEXT) | instid1(SALU_CYCLE_1)
	s_lshr_b32 s2, s2, 29
	s_add_co_i32 s2, s23, s2
	s_delay_alu instid0(SALU_CYCLE_1) | instskip(NEXT) | instid1(SALU_CYCLE_1)
	s_ashr_i32 s2, s2, 3
	s_cvt_f32_u32 s3, s2
	s_sub_co_i32 s7, 0, s2
	s_delay_alu instid0(SALU_CYCLE_2) | instskip(SKIP_1) | instid1(TRANS32_DEP_1)
	v_rcp_iflag_f32_e32 v1, s3
	v_nop
	v_readfirstlane_b32 s3, v1
	s_mul_f32 s3, s3, 0x4f7ffffe
	s_delay_alu instid0(SALU_CYCLE_3) | instskip(NEXT) | instid1(SALU_CYCLE_3)
	s_cvt_u32_f32 s3, s3
	s_mul_i32 s7, s7, s3
	s_delay_alu instid0(SALU_CYCLE_1) | instskip(NEXT) | instid1(SALU_CYCLE_1)
	s_mul_hi_u32 s7, s3, s7
	s_add_co_i32 s3, s3, s7
	s_cmp_eq_u32 s24, 0
	s_cselect_b32 s4, s4, s6
	s_delay_alu instid0(SALU_CYCLE_1) | instskip(NEXT) | instid1(SALU_CYCLE_1)
	s_mul_hi_u32 s3, s4, s3
	s_mul_i32 s5, s3, s2
	s_add_co_i32 s6, s3, 1
	s_sub_co_i32 s5, s4, s5
	s_delay_alu instid0(SALU_CYCLE_1)
	s_sub_co_i32 s7, s5, s2
	s_cmp_ge_u32 s5, s2
	s_cselect_b32 s3, s6, s3
	s_cselect_b32 s5, s7, s5
	s_add_co_i32 s6, s3, 1
	s_cmp_ge_u32 s5, s2
	s_cselect_b32 s28, s6, s3
	s_abs_i32 s2, s31
	s_abs_i32 s7, s23
	s_cvt_f32_u32 s3, s2
	s_sub_co_i32 s5, 0, s2
	s_lshl_b32 s4, s4, 3
	s_mul_i32 s6, s28, s23
	v_rcp_iflag_f32_e32 v1, s3
	s_sub_co_i32 s33, s4, s6
	s_xor_b32 s4, s23, s31
	s_delay_alu instid0(SALU_CYCLE_1) | instskip(SKIP_1) | instid1(TRANS32_DEP_1)
	s_ashr_i32 s25, s4, 31
	v_nop
	v_readfirstlane_b32 s3, v1
	s_mul_f32 s3, s3, 0x4f7ffffe
	s_delay_alu instid0(SALU_CYCLE_3) | instskip(NEXT) | instid1(SALU_CYCLE_3)
	s_cvt_u32_f32 s3, s3
	s_mul_i32 s5, s5, s3
	s_delay_alu instid0(SALU_CYCLE_1) | instskip(NEXT) | instid1(SALU_CYCLE_1)
	s_mul_hi_u32 s5, s3, s5
	s_add_co_i32 s3, s3, s5
	s_delay_alu instid0(SALU_CYCLE_1) | instskip(NEXT) | instid1(SALU_CYCLE_1)
	s_mul_hi_u32 s3, s7, s3
	s_mul_i32 s5, s3, s2
	s_delay_alu instid0(SALU_CYCLE_1)
	s_sub_co_i32 s4, s7, s5
	s_add_co_i32 s5, s3, 1
	s_sub_co_i32 s6, s4, s2
	s_cmp_ge_u32 s4, s2
	s_cselect_b32 s3, s5, s3
	s_cselect_b32 s4, s6, s4
	s_add_co_i32 s5, s3, 1
	s_cmp_ge_u32 s4, s2
	s_cselect_b32 s2, s5, s3
	s_load_b512 s[4:19], s[0:1], 0x0
	s_xor_b32 s2, s2, s25
	s_mov_b32 s3, 0
	s_sub_co_i32 s29, s2, s25
	s_delay_alu instid0(SALU_CYCLE_1) | instskip(NEXT) | instid1(SALU_CYCLE_1)
	s_abs_i32 s38, s29
	s_cvt_f32_u32 s2, s38
	s_delay_alu instid0(SALU_CYCLE_3) | instskip(SKIP_1) | instid1(TRANS32_DEP_1)
	v_rcp_iflag_f32_e32 v1, s2
	v_nop
	v_readfirstlane_b32 s2, v1
	s_wait_kmcnt 0x0
	s_cmp_eq_u64 s[10:11], 0
	s_cbranch_scc1 .LBB9_2
; %bb.1:
	s_abs_i32 s25, s36
	s_abs_i32 s31, s28
	s_cvt_f32_u32 s26, s25
	s_sub_co_i32 s27, 0, s25
	s_delay_alu instid0(SALU_CYCLE_2) | instskip(SKIP_1) | instid1(TRANS32_DEP_1)
	v_rcp_iflag_f32_e32 v1, s26
	v_nop
	v_readfirstlane_b32 s26, v1
	s_mul_f32 s26, s26, 0x4f7ffffe
	s_delay_alu instid0(SALU_CYCLE_3) | instskip(NEXT) | instid1(SALU_CYCLE_3)
	s_cvt_u32_f32 s26, s26
	s_mul_i32 s27, s27, s26
	s_delay_alu instid0(SALU_CYCLE_1) | instskip(NEXT) | instid1(SALU_CYCLE_1)
	s_mul_hi_u32 s27, s26, s27
	s_add_co_i32 s26, s26, s27
	s_delay_alu instid0(SALU_CYCLE_1) | instskip(SKIP_2) | instid1(SALU_CYCLE_1)
	s_mul_hi_u32 s34, s31, s26
	s_load_b64 s[26:27], s[0:1], 0xc8
	s_mul_i32 s34, s34, s25
	s_sub_co_i32 s31, s31, s34
	s_ashr_i32 s34, s28, 31
	s_sub_co_i32 s35, s31, s25
	s_cmp_ge_u32 s31, s25
	s_cselect_b32 s31, s35, s31
	s_delay_alu instid0(SALU_CYCLE_1) | instskip(SKIP_2) | instid1(SALU_CYCLE_1)
	s_sub_co_i32 s35, s31, s25
	s_cmp_ge_u32 s31, s25
	s_cselect_b32 s25, s35, s31
	s_xor_b32 s25, s25, s34
	s_delay_alu instid0(SALU_CYCLE_1) | instskip(NEXT) | instid1(SALU_CYCLE_1)
	s_sub_co_i32 s34, s25, s34
	s_ashr_i32 s35, s34, 31
	s_wait_kmcnt 0x0
	s_mul_u64 s[26:27], s[26:27], s[34:35]
	s_delay_alu instid0(SALU_CYCLE_1)
	s_add_nc_u64 s[34:35], s[10:11], s[26:27]
.LBB9_2:
	s_bfe_u32 s10, ttmp6, 0x4000c
	v_dual_lshrrev_b32 v1, 10, v0 :: v_dual_mov_b32 v3, 0
	s_add_co_i32 s10, s10, 1
	s_and_b32 s11, ttmp6, 15
	s_mul_i32 s10, ttmp9, s10
	s_delay_alu instid0(VALU_DEP_1)
	v_bfe_u32 v1, v1, 1, 9
	s_add_co_i32 s11, s11, s10
	s_cmp_eq_u32 s24, 0
	v_bfe_u32 v8, v0, 10, 10
	s_cselect_b32 s25, ttmp9, s11
	s_load_b96 s[40:42], s[0:1], 0x70
	v_lshl_add_u32 v38, s25, 2, v1
	s_delay_alu instid0(VALU_DEP_2) | instskip(SKIP_1) | instid1(VALU_DEP_3)
	v_dual_mov_b32 v13, v3 :: v_dual_lshlrev_b32 v10, 2, v8
	v_mul_u32_u24_e32 v40, 0x600, v8
	v_mul_hi_u32 v1, s20, v38
	s_delay_alu instid0(VALU_DEP_1) | instskip(SKIP_3) | instid1(VALU_DEP_1)
	v_dual_add_nc_u32 v1, v38, v1 :: v_dual_bitop2_b32 v12, 4, v10 bitop3:0x40
	s_wait_kmcnt 0x0
	s_mul_i32 s20, s33, s41
	s_ashr_i32 s11, s41, 31
	v_lshrrev_b32_e32 v1, s21, v1
	s_mov_b32 s10, s41
	s_ashr_i32 s41, s40, 31
	s_lshr_b64 s[10:11], s[10:11], 2
	s_lshr_b64 s[26:27], s[40:41], 2
	v_mul_lo_u32 v1, v1, s22
	s_ashr_i32 s21, s20, 31
	v_mul_u64_e32 v[6:7], s[10:11], v[12:13]
	v_and_b32_e32 v13, 0x3ff, v0
	s_delay_alu instid0(VALU_DEP_1) | instskip(SKIP_2) | instid1(VALU_DEP_1)
	v_lshlrev_b32_e32 v0, 4, v13
	v_cmp_gt_u32_e32 vcc_lo, 16, v13
	v_dual_mov_b32 v1, v3 :: v_dual_sub_nc_u32 v2, v38, v1
	v_mul_u64_e32 v[4:5], s[26:27], v[2:3]
	s_mul_i32 s26, s28, s42
	s_delay_alu instid0(SALU_CYCLE_1) | instskip(NEXT) | instid1(SALU_CYCLE_1)
	s_ashr_i32 s27, s26, 31
	s_add_nc_u64 s[4:5], s[4:5], s[26:27]
	s_delay_alu instid0(SALU_CYCLE_1)
	s_add_nc_u64 s[4:5], s[4:5], s[20:21]
	s_delay_alu instid0(VALU_DEP_1) | instid1(SALU_CYCLE_1)
	v_lshl_add_u64 v[4:5], v[4:5], 2, s[4:5]
	s_load_b32 s4, s[0:1], 0x40
	s_delay_alu instid0(VALU_DEP_1) | instskip(NEXT) | instid1(VALU_DEP_1)
	v_add_nc_u64_e32 v[0:1], v[4:5], v[0:1]
	v_lshl_add_u64 v[4:5], v[6:7], 2, v[0:1]
	global_load_b128 v[14:17], v[4:5], off
	s_wait_kmcnt 0x0
	s_mov_b32 s5, s4
	s_wait_loadcnt 0x0
	v_fma_mixlo_f16 v9, s4, v14, 0
	v_mov_b32_e32 v14, v17
	s_delay_alu instid0(VALU_DEP_2) | instskip(SKIP_1) | instid1(VALU_DEP_3)
	v_and_b32_e32 v11, 0xffff, v9
	v_lshlrev_b32_e32 v9, 3, v13
	v_pk_mul_f32 v[6:7], s[4:5], v[14:15] op_sel_hi:[0,1]
	s_delay_alu instid0(VALU_DEP_1) | instskip(SKIP_1) | instid1(VALU_DEP_2)
	v_cvt_pk_f16_f32 v6, v6, v7
	v_fma_mixlo_f16 v7, s4, v16, 0
	v_and_b32_e32 v14, 0xffff0000, v6
	s_delay_alu instid0(VALU_DEP_2) | instskip(NEXT) | instid1(VALU_DEP_2)
	v_and_b32_e32 v7, 0xffff, v7
	v_dual_lshlrev_b32 v6, 16, v6 :: v_dual_bitop2_b32 v11, v14, v11 bitop3:0x54
	v_mad_u32_u24 v14, 0x600, v8, v9
	s_delay_alu instid0(VALU_DEP_2) | instskip(NEXT) | instid1(VALU_DEP_3)
	v_or3_b32 v7, v6, v7, 0
	v_or3_b32 v6, 0, 0, v11
	ds_store_b64 v14, v[6:7]
	s_and_saveexec_b32 s20, vcc_lo
	s_cbranch_execz .LBB9_4
; %bb.3:
	global_load_b128 v[4:7], v[4:5], off offset:512
	v_mov_b64_e32 v[14:15], s[4:5]
	s_wait_loadcnt 0x0
	v_fma_mixlo_f16 v11, s4, v4, 0
	v_mov_b32_e32 v4, v7
	s_delay_alu instid0(VALU_DEP_1) | instskip(NEXT) | instid1(VALU_DEP_1)
	v_pk_mul_f32 v[4:5], v[14:15], v[4:5]
	v_cvt_pk_f16_f32 v4, v4, v5
	v_fma_mixlo_f16 v5, s4, v6, 0
	v_and_b32_e32 v6, 0xffff, v11
	s_delay_alu instid0(VALU_DEP_3) | instskip(NEXT) | instid1(VALU_DEP_3)
	v_and_b32_e32 v7, 0xffff0000, v4
	v_and_b32_e32 v5, 0xffff, v5
	s_delay_alu instid0(VALU_DEP_2) | instskip(NEXT) | instid1(VALU_DEP_1)
	v_dual_lshlrev_b32 v4, 16, v4 :: v_dual_bitop2_b32 v6, v7, v6 bitop3:0x54
	v_or3_b32 v5, v4, v5, 0
	s_delay_alu instid0(VALU_DEP_2)
	v_or3_b32 v4, 0, 0, v6
	v_add_nc_u32_e32 v6, v9, v40
	ds_store_b64 v6, v[4:5] offset:256
.LBB9_4:
	s_or_b32 exec_lo, exec_lo, s20
	v_bitop3_b32 v4, v10, 5, 1 bitop3:0xc8
	v_mov_b32_e32 v5, v3
	v_mov_b64_e32 v[6:7], s[4:5]
	s_delay_alu instid0(VALU_DEP_2) | instskip(NEXT) | instid1(VALU_DEP_1)
	v_mul_u64_e32 v[4:5], s[10:11], v[4:5]
	v_lshl_add_u64 v[4:5], v[4:5], 2, v[0:1]
	global_load_b128 v[14:17], v[4:5], off
	s_wait_loadcnt 0x0
	v_fma_mixlo_f16 v3, s4, v14, 0
	v_mov_b32_e32 v14, v17
	s_delay_alu instid0(VALU_DEP_2) | instskip(NEXT) | instid1(VALU_DEP_2)
	v_and_b32_e32 v3, 0xffff, v3
	v_pk_mul_f32 v[6:7], v[6:7], v[14:15]
	v_or_b32_e32 v14, 1, v10
	s_delay_alu instid0(VALU_DEP_2) | instskip(SKIP_1) | instid1(VALU_DEP_2)
	v_cvt_pk_f16_f32 v6, v6, v7
	v_fma_mixlo_f16 v7, s4, v16, 0
	v_and_b32_e32 v11, 0xffff0000, v6
	s_delay_alu instid0(VALU_DEP_2) | instskip(NEXT) | instid1(VALU_DEP_2)
	v_and_b32_e32 v7, 0xffff, v7
	v_dual_lshlrev_b32 v6, 16, v6 :: v_dual_bitop2_b32 v3, v11, v3 bitop3:0x54
	v_mul_u32_u24_e32 v11, 0x180, v14
	s_delay_alu instid0(VALU_DEP_2) | instskip(NEXT) | instid1(VALU_DEP_3)
	v_or3_b32 v7, v6, v7, 0
	v_or3_b32 v6, 0, 0, v3
	s_delay_alu instid0(VALU_DEP_3)
	v_add_nc_u32_e32 v3, v9, v11
	v_mad_u32_u24 v14, 0x180, v14, v9
	ds_store_b64 v14, v[6:7]
	s_and_saveexec_b32 s20, vcc_lo
	s_cbranch_execz .LBB9_6
; %bb.5:
	global_load_b128 v[4:7], v[4:5], off offset:512
	v_mov_b64_e32 v[14:15], s[4:5]
	s_wait_loadcnt 0x0
	v_fma_mixlo_f16 v11, s4, v4, 0
	v_mov_b32_e32 v4, v7
	s_delay_alu instid0(VALU_DEP_1) | instskip(NEXT) | instid1(VALU_DEP_1)
	v_pk_mul_f32 v[4:5], v[14:15], v[4:5]
	v_cvt_pk_f16_f32 v4, v4, v5
	v_fma_mixlo_f16 v5, s4, v6, 0
	v_and_b32_e32 v6, 0xffff, v11
	s_delay_alu instid0(VALU_DEP_3) | instskip(NEXT) | instid1(VALU_DEP_3)
	v_and_b32_e32 v7, 0xffff0000, v4
	v_and_b32_e32 v5, 0xffff, v5
	s_delay_alu instid0(VALU_DEP_2) | instskip(NEXT) | instid1(VALU_DEP_1)
	v_dual_lshlrev_b32 v4, 16, v4 :: v_dual_bitop2_b32 v6, v7, v6 bitop3:0x54
	v_or3_b32 v5, v4, v5, 0
	s_delay_alu instid0(VALU_DEP_2)
	v_or3_b32 v4, 0, 0, v6
	ds_store_b64 v3, v[4:5] offset:256
.LBB9_6:
	s_or_b32 exec_lo, exec_lo, s20
	v_bitop3_b32 v4, v10, 6, 2 bitop3:0xc8
	v_mov_b32_e32 v5, 0
	v_mov_b64_e32 v[18:19], s[4:5]
	s_delay_alu instid0(VALU_DEP_2) | instskip(NEXT) | instid1(VALU_DEP_1)
	v_mul_u64_e32 v[6:7], s[10:11], v[4:5]
	v_lshl_add_u64 v[6:7], v[6:7], 2, v[0:1]
	global_load_b128 v[14:17], v[6:7], off
	s_wait_loadcnt 0x0
	v_fma_mixlo_f16 v4, s4, v14, 0
	v_mov_b32_e32 v14, v17
	s_delay_alu instid0(VALU_DEP_2) | instskip(NEXT) | instid1(VALU_DEP_2)
	v_and_b32_e32 v4, 0xffff, v4
	v_pk_mul_f32 v[14:15], v[18:19], v[14:15]
	s_delay_alu instid0(VALU_DEP_1) | instskip(SKIP_1) | instid1(VALU_DEP_2)
	v_cvt_pk_f16_f32 v11, v14, v15
	v_fma_mixlo_f16 v14, s4, v16, 0
	v_and_b32_e32 v15, 0xffff0000, v11
	s_delay_alu instid0(VALU_DEP_2) | instskip(NEXT) | instid1(VALU_DEP_2)
	v_and_b32_e32 v14, 0xffff, v14
	v_dual_lshlrev_b32 v11, 16, v11 :: v_dual_bitop2_b32 v4, v15, v4 bitop3:0x54
	s_delay_alu instid0(VALU_DEP_1) | instskip(NEXT) | instid1(VALU_DEP_2)
	v_or3_b32 v15, v11, v14, 0
	v_or3_b32 v14, 0, 0, v4
	ds_store_b64 v3, v[14:15] offset:384
	s_and_saveexec_b32 s20, vcc_lo
	s_cbranch_execz .LBB9_8
; %bb.7:
	global_load_b128 v[14:17], v[6:7], off offset:512
	s_wait_xcnt 0x0
	v_mov_b64_e32 v[6:7], s[4:5]
	s_wait_loadcnt 0x0
	v_fma_mixlo_f16 v4, s4, v14, 0
	v_mov_b32_e32 v14, v17
	s_delay_alu instid0(VALU_DEP_2) | instskip(NEXT) | instid1(VALU_DEP_2)
	v_and_b32_e32 v4, 0xffff, v4
	v_pk_mul_f32 v[6:7], v[6:7], v[14:15]
	s_delay_alu instid0(VALU_DEP_1) | instskip(SKIP_1) | instid1(VALU_DEP_2)
	v_cvt_pk_f16_f32 v6, v6, v7
	v_fma_mixlo_f16 v7, s4, v16, 0
	v_and_b32_e32 v11, 0xffff0000, v6
	s_delay_alu instid0(VALU_DEP_2) | instskip(NEXT) | instid1(VALU_DEP_2)
	v_and_b32_e32 v7, 0xffff, v7
	v_dual_lshlrev_b32 v6, 16, v6 :: v_dual_bitop2_b32 v4, v11, v4 bitop3:0x54
	s_delay_alu instid0(VALU_DEP_1) | instskip(NEXT) | instid1(VALU_DEP_2)
	v_or3_b32 v7, v6, v7, 0
	v_or3_b32 v6, 0, 0, v4
	ds_store_b64 v3, v[6:7] offset:640
.LBB9_8:
	s_or_b32 exec_lo, exec_lo, s20
	v_bitop3_b32 v4, v10, 7, 3 bitop3:0xc8
	v_mov_b64_e32 v[14:15], s[4:5]
	s_delay_alu instid0(VALU_DEP_2) | instskip(NEXT) | instid1(VALU_DEP_1)
	v_mul_u64_e32 v[4:5], s[10:11], v[4:5]
	v_lshl_add_u64 v[0:1], v[4:5], 2, v[0:1]
	global_load_b128 v[4:7], v[0:1], off
	s_wait_loadcnt 0x0
	v_fma_mixlo_f16 v11, s4, v4, 0
	v_mov_b32_e32 v4, v7
	s_delay_alu instid0(VALU_DEP_1) | instskip(NEXT) | instid1(VALU_DEP_1)
	v_pk_mul_f32 v[4:5], v[14:15], v[4:5]
	v_cvt_pk_f16_f32 v4, v4, v5
	v_fma_mixlo_f16 v5, s4, v6, 0
	v_and_b32_e32 v6, 0xffff, v11
	s_delay_alu instid0(VALU_DEP_3) | instskip(NEXT) | instid1(VALU_DEP_3)
	v_and_b32_e32 v7, 0xffff0000, v4
	v_and_b32_e32 v5, 0xffff, v5
	s_delay_alu instid0(VALU_DEP_2) | instskip(NEXT) | instid1(VALU_DEP_1)
	v_dual_lshlrev_b32 v4, 16, v4 :: v_dual_bitop2_b32 v6, v7, v6 bitop3:0x54
	v_or3_b32 v5, v4, v5, 0
	s_delay_alu instid0(VALU_DEP_2)
	v_or3_b32 v4, 0, 0, v6
	ds_store_b64 v3, v[4:5] offset:768
	s_and_saveexec_b32 s10, vcc_lo
	s_cbranch_execz .LBB9_10
; %bb.9:
	global_load_b128 v[4:7], v[0:1], off offset:512
	s_wait_xcnt 0x0
	v_mov_b64_e32 v[0:1], s[4:5]
	s_wait_loadcnt 0x0
	v_fma_mixlo_f16 v11, s4, v4, 0
	v_mov_b32_e32 v4, v7
	s_delay_alu instid0(VALU_DEP_1) | instskip(NEXT) | instid1(VALU_DEP_3)
	v_pk_mul_f32 v[0:1], v[0:1], v[4:5]
	v_and_b32_e32 v4, 0xffff, v11
	s_delay_alu instid0(VALU_DEP_2) | instskip(SKIP_1) | instid1(VALU_DEP_2)
	v_cvt_pk_f16_f32 v0, v0, v1
	v_fma_mixlo_f16 v1, s4, v6, 0
	v_and_b32_e32 v5, 0xffff0000, v0
	s_delay_alu instid0(VALU_DEP_2) | instskip(SKIP_1) | instid1(VALU_DEP_3)
	v_and_b32_e32 v1, 0xffff, v1
	v_lshlrev_b32_e32 v0, 16, v0
	v_or_b32_e32 v4, v5, v4
	s_delay_alu instid0(VALU_DEP_2) | instskip(NEXT) | instid1(VALU_DEP_2)
	v_or3_b32 v1, v0, v1, 0
	v_or3_b32 v0, 0, 0, v4
	ds_store_b64 v3, v[0:1] offset:1024
.LBB9_10:
	s_or_b32 exec_lo, exec_lo, s10
	s_cmp_eq_u64 s[14:15], 0
	s_wait_dscnt 0x0
	s_barrier_signal -1
	s_barrier_wait -1
	s_cbranch_scc1 .LBB9_12
; %bb.11:
	s_load_b32 s4, s[0:1], 0xd0
	s_wait_kmcnt 0x0
	s_mul_i32 s4, s4, s28
	s_delay_alu instid0(SALU_CYCLE_1)
	s_add_co_i32 s4, s4, s25
	s_load_b32 s30, s[14:15], s4 offset:0x0 scale_offset
.LBB9_12:
	s_wait_xcnt 0x0
	s_bfe_u32 s4, ttmp6, 0x40010
	s_and_b32 s5, ttmp7, 0xffff
	s_add_co_i32 s4, s4, 1
	s_bfe_u32 s10, ttmp6, 0x40004
	s_mul_i32 s4, s5, s4
	v_mbcnt_lo_u32_b32 v41, -1, 0
	s_add_co_i32 s10, s10, s4
	s_cmp_eq_u32 s24, 0
	s_mov_b32 s4, 0
	s_cselect_b32 s31, s5, s10
	s_delay_alu instid0(SALU_CYCLE_1)
	s_lshl_b32 s10, s31, 6
	s_wait_kmcnt 0x0
	s_cmp_lt_i32 s10, s30
	s_cbranch_scc1 .LBB9_15
; %bb.13:
	v_mbcnt_lo_u32_b32 v5, -1, 0
	s_delay_alu instid0(VALU_DEP_1)
	v_dual_mov_b32 v4, 32 :: v_dual_bitop2_b32 v46, 16, v5 bitop3:0x14
	v_xor_b32_e32 v45, 8, v5
	v_xor_b32_e32 v44, 4, v5
	;; [unrolled: 1-line block ×4, first 2 shown]
	v_lshlrev_b32_e32 v39, 2, v13
	s_and_not1_b32 vcc_lo, exec_lo, s4
	s_cbranch_vccz .LBB9_16
; %bb.14:
	v_dual_mov_b32 v65, 0 :: v_dual_mov_b32 v15, 0
	v_dual_mov_b32 v3, 0xfeffffff :: v_dual_mov_b32 v2, 0xfeffffff
	;; [unrolled: 1-line block ×3, first 2 shown]
	s_delay_alu instid0(VALU_DEP_3)
	v_dual_mov_b32 v14, v15 :: v_dual_mov_b32 v17, v15
	v_dual_mov_b32 v16, v15 :: v_dual_mov_b32 v66, 0
	;; [unrolled: 1-line block ×5, first 2 shown]
	s_branch .LBB9_19
.LBB9_15:
                                        ; implicit-def: $vgpr5
                                        ; implicit-def: $vgpr4
                                        ; implicit-def: $vgpr46
                                        ; implicit-def: $vgpr45
                                        ; implicit-def: $vgpr44
                                        ; implicit-def: $vgpr43
                                        ; implicit-def: $vgpr42
	v_lshlrev_b32_e32 v39, 2, v13
.LBB9_16:
	s_clause 0x1
	s_load_b64 s[4:5], s[0:1], 0x8c
	s_load_b128 s[24:27], s[0:1], 0x98
	s_mul_f32 s2, s2, 0x4f7ffffe
	s_sub_co_i32 s11, 0, s38
	v_dual_lshrrev_b32 v0, 3, v13 :: v_dual_bitop2_b32 v4, 28, v39 bitop3:0x40
	s_delay_alu instid0(SALU_CYCLE_1) | instskip(SKIP_2) | instid1(VALU_DEP_2)
	s_cvt_u32_f32 s14, s2
	v_lshrrev_b32_e32 v1, 4, v13
	s_abs_i32 s2, s33
	v_add_nc_u32_e32 v0, v0, v10
	s_mul_i32 s11, s11, s14
	s_mov_b32 s15, s3
	s_mul_hi_u32 s11, s14, s11
	v_lshl_add_u32 v1, v8, 1, v1
	s_add_co_i32 s14, s14, s11
	s_ashr_i32 s20, s33, 31
	s_mul_u64 s[14:15], s[2:3], s[14:15]
	s_ashr_i32 s21, s29, 31
	s_mul_i32 s3, s15, s38
	s_load_b64 s[40:41], s[0:1], 0xa8
	s_sub_co_i32 s2, s2, s3
	s_xor_b32 s21, s20, s21
	s_wait_kmcnt 0x0
	s_ashr_i32 s14, s26, 2
	s_ashr_i32 s20, s4, 2
	;; [unrolled: 1-line block ×4, first 2 shown]
	s_add_co_i32 s3, s15, 1
	s_sub_co_i32 s4, s2, s38
	s_cmp_ge_u32 s2, s38
	v_mul_lo_u32 v18, s20, v0
	v_mul_lo_u32 v10, s14, v1
	s_cselect_b32 s3, s3, s15
	s_cselect_b32 s2, s4, s2
	s_add_co_i32 s4, s3, 1
	s_cmp_ge_u32 s2, s38
	v_dual_lshlrev_b32 v3, 2, v4 :: v_dual_mov_b32 v21, 0
	v_and_b32_e32 v6, 60, v39
	s_cselect_b32 s2, s4, s3
	v_mad_u32 v50, v2, s11, v13
	s_xor_b32 s2, s2, s21
	v_mad_u32_u24 v0, 0x90, v0, v3
	s_sub_co_i32 s15, s2, s21
	v_ashrrev_i32_e32 v19, 31, v18
	v_lshlrev_b32_e32 v3, 2, v6
	v_lshl_add_u32 v2, s14, 4, v10
	s_mul_u64 s[2:3], s[24:25], s[28:29]
	s_mul_i32 s4, s15, s5
	s_add_nc_u64 s[2:3], s[6:7], s[2:3]
	s_ashr_i32 s5, s4, 31
	v_dual_mov_b32 v60, v21 :: v_dual_add_nc_u32 v47, 0x3000, v0
	v_dual_mov_b32 v27, v21 :: v_dual_add_nc_u32 v48, 0x4200, v0
	v_lshl_or_b32 v0, v1, 8, v3
	v_dual_ashrrev_i32 v11, 31, v10 :: v_dual_bitop2_b32 v46, 16, v41 bitop3:0x14
	v_dual_ashrrev_i32 v3, 31, v2 :: v_dual_bitop2_b32 v45, 8, v41 bitop3:0x14
	s_mul_u64 s[6:7], s[40:41], s[28:29]
	s_add_nc_u64 s[24:25], s[2:3], s[4:5]
	s_mul_i32 s2, s15, s27
	v_lshl_add_u32 v22, s20, 5, v18
	v_lshl_add_u32 v51, v8, 9, 0x5400
	s_add_nc_u64 s[4:5], s[8:9], s[6:7]
	s_ashr_i32 s3, s2, 31
	v_lshlrev_b64_e32 v[24:25], 2, v[10:11]
	s_add_nc_u64 s[26:27], s[4:5], s[2:3]
	s_movk_i32 s2, 0x3000
	v_lshlrev_b64_e32 v[28:29], 2, v[2:3]
	v_dual_ashrrev_i32 v23, 31, v22 :: v_dual_lshlrev_b32 v20, 2, v4
	v_mad_u32_u24 v49, 0x90, v13, s2
	v_dual_mov_b32 v59, v21 :: v_dual_add_nc_u32 v52, 0x3000, v0
	v_dual_mov_b32 v62, v21 :: v_dual_add_nc_u32 v53, 0x4000, v0
	v_mov_b32_e32 v0, 0xfeffffff
	v_dual_lshlrev_b32 v26, 2, v6 :: v_dual_bitop2_b32 v44, 4, v41 bitop3:0x14
	v_dual_mov_b32 v61, v21 :: v_dual_bitop2_b32 v43, 2, v41 bitop3:0x14
	v_dual_mov_b32 v64, v21 :: v_dual_bitop2_b32 v42, 1, v41 bitop3:0x14
	v_dual_mov_b32 v63, v21 :: v_dual_add_nc_u32 v54, v51, v9
	v_dual_mov_b32 v66, v21 :: v_dual_add_nc_u32 v55, 0x3000, v9
	;; [unrolled: 1-line block ×5, first 2 shown]
	v_dual_mov_b32 v1, 0xfeffffff :: v_dual_mov_b32 v2, 0xfeffffff
	v_dual_mov_b32 v3, 0xfeffffff :: v_dual_mov_b32 v14, v21
	v_mov_b32_e32 v15, v21
	s_ashr_i32 s21, s20, 31
	s_ashr_i32 s15, s14, 31
	s_add_nc_u64 s[36:37], s[0:1], 0xd0
.LBB9_17:                               ; =>This Inner Loop Header: Depth=1
	v_cmp_gt_i32_e32 vcc_lo, 32, v46
	v_dual_mov_b32 v67, v0 :: v_dual_mov_b32 v68, v1
	v_dual_mov_b32 v69, v2 :: v_dual_mov_b32 v70, v3
	v_cndmask_b32_e32 v0, v41, v46, vcc_lo
	v_cmp_gt_i32_e32 vcc_lo, 32, v45
	v_add_nc_u32_e32 v8, s10, v50
	s_ashr_i32 s11, s10, 31
	v_dual_mov_b32 v32, 0 :: v_dual_mov_b32 v33, 0
	v_cndmask_b32_e32 v1, v41, v45, vcc_lo
	v_cmp_gt_i32_e32 vcc_lo, 32, v44
	s_mul_u64 s[2:3], s[10:11], s[20:21]
	v_dual_mov_b32 v34, 0 :: v_dual_mov_b32 v35, 0
	s_lshl_b64 s[2:3], s[2:3], 2
	v_cndmask_b32_e32 v2, v41, v44, vcc_lo
	v_cmp_gt_i32_e32 vcc_lo, 32, v43
	s_add_nc_u64 s[6:7], s[24:25], s[2:3]
	v_dual_lshlrev_b32 v31, 2, v0 :: v_dual_lshlrev_b32 v30, 2, v1
	v_lshl_add_u64 v[0:1], v[18:19], 2, s[6:7]
	v_cndmask_b32_e32 v3, v41, v43, vcc_lo
	v_cmp_gt_i32_e32 vcc_lo, 32, v42
	v_dual_mov_b32 v36, 0 :: v_dual_mov_b32 v37, 0
	s_delay_alu instid0(VALU_DEP_4)
	v_add_nc_u64_e32 v[0:1], v[0:1], v[20:21]
	v_dual_mov_b32 v71, 0 :: v_dual_mov_b32 v72, 0
	v_cndmask_b32_e32 v4, v41, v42, vcc_lo
	v_dual_lshlrev_b32 v11, 2, v2 :: v_dual_lshlrev_b32 v10, 2, v3
	v_lshl_add_u64 v[2:3], v[22:23], 2, s[6:7]
	s_mul_u64 s[4:5], s[10:11], s[14:15]
	s_delay_alu instid0(SALU_CYCLE_1) | instskip(NEXT) | instid1(VALU_DEP_1)
	s_lshl_b64 s[4:5], s[4:5], 2
	v_add_nc_u64_e32 v[2:3], v[2:3], v[20:21]
	s_clause 0x1
	global_load_b128 v[74:77], v[0:1], off
	global_load_b128 v[78:81], v[2:3], off
	s_add_nc_u64 s[2:3], s[26:27], s[4:5]
	s_wait_loadcnt 0x1
	ds_store_b128 v47, v[74:77]
	s_wait_loadcnt 0x0
	ds_store_b128 v48, v[78:81]
	s_wait_dscnt 0x0
	s_barrier_signal -1
	s_barrier_wait -1
	ds_load_b128 v[74:77], v49
	ds_load_b128 v[78:81], v40
	ds_load_b128 v[82:85], v40 offset:384
	ds_load_b128 v[86:89], v40 offset:768
	;; [unrolled: 1-line block ×4, first 2 shown]
	v_add_nc_u64_e32 v[6:7], s[2:3], v[28:29]
	s_wait_dscnt 0x4
	;;#ASMSTART
	v_dot2_f32_f16 v32, v74, v78, v32
	;;#ASMEND
	;;#ASMSTART
	v_dot2_f32_f16 v32, v75, v79, v32
	;;#ASMEND
	;;#ASMSTART
	v_dot2_f32_f16 v32, v76, v80, v32
	;;#ASMEND
	;;#ASMSTART
	v_dot2_f32_f16 v32, v77, v81, v32
	;;#ASMEND
	s_wait_dscnt 0x3
	;;#ASMSTART
	v_dot2_f32_f16 v33, v74, v82, v33
	;;#ASMEND
	;;#ASMSTART
	v_dot2_f32_f16 v33, v75, v83, v33
	;;#ASMEND
	;;#ASMSTART
	v_dot2_f32_f16 v33, v76, v84, v33
	;;#ASMEND
	;;#ASMSTART
	v_dot2_f32_f16 v33, v77, v85, v33
	;;#ASMEND
	s_wait_dscnt 0x2
	;;#ASMSTART
	v_dot2_f32_f16 v34, v74, v86, v34
	;;#ASMEND
	;;#ASMSTART
	v_dot2_f32_f16 v34, v75, v87, v34
	;;#ASMEND
	;;#ASMSTART
	v_dot2_f32_f16 v34, v76, v88, v34
	;;#ASMEND
	;;#ASMSTART
	v_dot2_f32_f16 v34, v77, v89, v34
	;;#ASMEND
	s_wait_dscnt 0x1
	;;#ASMSTART
	v_dot2_f32_f16 v35, v74, v90, v35
	;;#ASMEND
	;;#ASMSTART
	v_dot2_f32_f16 v35, v75, v91, v35
	;;#ASMEND
	;;#ASMSTART
	v_dot2_f32_f16 v35, v76, v92, v35
	;;#ASMEND
	;;#ASMSTART
	v_dot2_f32_f16 v35, v77, v93, v35
	;;#ASMEND
	s_wait_dscnt 0x0
	;;#ASMSTART
	v_dot2_f32_f16 v36, v94, v78, v36
	;;#ASMEND
	;;#ASMSTART
	v_dot2_f32_f16 v36, v95, v79, v36
	;;#ASMEND
	;;#ASMSTART
	v_dot2_f32_f16 v36, v96, v80, v36
	;;#ASMEND
	;;#ASMSTART
	v_dot2_f32_f16 v36, v97, v81, v36
	;;#ASMEND
	;;#ASMSTART
	v_dot2_f32_f16 v37, v94, v82, v37
	;;#ASMEND
	;;#ASMSTART
	v_dot2_f32_f16 v37, v95, v83, v37
	;;#ASMEND
	;; [unrolled: 3-line block ×12, first 2 shown]
	ds_load_b128 v[74:77], v49 offset:16
	ds_load_b128 v[78:81], v40 offset:16
	;; [unrolled: 1-line block ×6, first 2 shown]
	s_wait_dscnt 0x4
	;;#ASMSTART
	v_dot2_f32_f16 v32, v74, v78, v32
	;;#ASMEND
	;;#ASMSTART
	v_dot2_f32_f16 v32, v75, v79, v32
	;;#ASMEND
	;;#ASMSTART
	v_dot2_f32_f16 v32, v76, v80, v32
	;;#ASMEND
	;;#ASMSTART
	v_dot2_f32_f16 v32, v77, v81, v32
	;;#ASMEND
	s_wait_dscnt 0x3
	;;#ASMSTART
	v_dot2_f32_f16 v33, v74, v82, v33
	;;#ASMEND
	;;#ASMSTART
	v_dot2_f32_f16 v33, v75, v83, v33
	;;#ASMEND
	;;#ASMSTART
	v_dot2_f32_f16 v33, v76, v84, v33
	;;#ASMEND
	;;#ASMSTART
	v_dot2_f32_f16 v33, v77, v85, v33
	;;#ASMEND
	;; [unrolled: 13-line block ×5, first 2 shown]
	;;#ASMSTART
	v_dot2_f32_f16 v37, v94, v82, v37
	;;#ASMEND
	;;#ASMSTART
	v_dot2_f32_f16 v37, v95, v83, v37
	;;#ASMEND
	;; [unrolled: 3-line block ×12, first 2 shown]
	ds_load_b128 v[74:77], v49 offset:32
	ds_load_b128 v[78:81], v40 offset:32
	;; [unrolled: 1-line block ×6, first 2 shown]
	s_wait_dscnt 0x4
	;;#ASMSTART
	v_dot2_f32_f16 v32, v74, v78, v32
	;;#ASMEND
	;;#ASMSTART
	v_dot2_f32_f16 v32, v75, v79, v32
	;;#ASMEND
	;;#ASMSTART
	v_dot2_f32_f16 v32, v76, v80, v32
	;;#ASMEND
	;;#ASMSTART
	v_dot2_f32_f16 v32, v77, v81, v32
	;;#ASMEND
	s_wait_dscnt 0x3
	;;#ASMSTART
	v_dot2_f32_f16 v33, v74, v82, v33
	;;#ASMEND
	;;#ASMSTART
	v_dot2_f32_f16 v33, v75, v83, v33
	;;#ASMEND
	;;#ASMSTART
	v_dot2_f32_f16 v33, v76, v84, v33
	;;#ASMEND
	;;#ASMSTART
	v_dot2_f32_f16 v33, v77, v85, v33
	;;#ASMEND
	;; [unrolled: 13-line block ×5, first 2 shown]
	;;#ASMSTART
	v_dot2_f32_f16 v37, v94, v82, v37
	;;#ASMEND
	;;#ASMSTART
	v_dot2_f32_f16 v37, v95, v83, v37
	;;#ASMEND
	;; [unrolled: 3-line block ×12, first 2 shown]
	ds_load_b128 v[74:77], v49 offset:48
	ds_load_b128 v[78:81], v40 offset:48
	;; [unrolled: 1-line block ×6, first 2 shown]
	s_wait_dscnt 0x4
	;;#ASMSTART
	v_dot2_f32_f16 v32, v74, v78, v32
	;;#ASMEND
	;;#ASMSTART
	v_dot2_f32_f16 v32, v75, v79, v32
	;;#ASMEND
	;;#ASMSTART
	v_dot2_f32_f16 v32, v76, v80, v32
	;;#ASMEND
	;;#ASMSTART
	v_dot2_f32_f16 v32, v77, v81, v32
	;;#ASMEND
	s_wait_dscnt 0x3
	;;#ASMSTART
	v_dot2_f32_f16 v33, v74, v82, v33
	;;#ASMEND
	;;#ASMSTART
	v_dot2_f32_f16 v33, v75, v83, v33
	;;#ASMEND
	;;#ASMSTART
	v_dot2_f32_f16 v33, v76, v84, v33
	;;#ASMEND
	;;#ASMSTART
	v_dot2_f32_f16 v33, v77, v85, v33
	;;#ASMEND
	;; [unrolled: 13-line block ×5, first 2 shown]
	;;#ASMSTART
	v_dot2_f32_f16 v37, v94, v82, v37
	;;#ASMEND
	;;#ASMSTART
	v_dot2_f32_f16 v37, v95, v83, v37
	;;#ASMEND
	;;#ASMSTART
	v_dot2_f32_f16 v37, v96, v84, v37
	;;#ASMEND
	;;#ASMSTART
	v_dot2_f32_f16 v37, v97, v85, v37
	;;#ASMEND
	;;#ASMSTART
	v_dot2_f32_f16 v71, v94, v86, v71
	;;#ASMEND
	;;#ASMSTART
	v_dot2_f32_f16 v71, v95, v87, v71
	;;#ASMEND
	;;#ASMSTART
	v_dot2_f32_f16 v71, v96, v88, v71
	;;#ASMEND
	;;#ASMSTART
	v_dot2_f32_f16 v71, v97, v89, v71
	;;#ASMEND
	;;#ASMSTART
	v_dot2_f32_f16 v72, v94, v90, v72
	;;#ASMEND
	;;#ASMSTART
	v_dot2_f32_f16 v72, v95, v91, v72
	;;#ASMEND
	;;#ASMSTART
	v_dot2_f32_f16 v72, v96, v92, v72
	;;#ASMEND
	;;#ASMSTART
	v_dot2_f32_f16 v72, v97, v93, v72
	;;#ASMEND
	ds_load_b128 v[74:77], v49 offset:64
	ds_load_b128 v[78:81], v40 offset:64
	;; [unrolled: 1-line block ×6, first 2 shown]
	s_wait_dscnt 0x4
	;;#ASMSTART
	v_dot2_f32_f16 v32, v74, v78, v32
	;;#ASMEND
	;;#ASMSTART
	v_dot2_f32_f16 v32, v75, v79, v32
	;;#ASMEND
	;;#ASMSTART
	v_dot2_f32_f16 v32, v76, v80, v32
	;;#ASMEND
	;;#ASMSTART
	v_dot2_f32_f16 v32, v77, v81, v32
	;;#ASMEND
	s_wait_dscnt 0x3
	;;#ASMSTART
	v_dot2_f32_f16 v33, v74, v82, v33
	;;#ASMEND
	;;#ASMSTART
	v_dot2_f32_f16 v33, v75, v83, v33
	;;#ASMEND
	;;#ASMSTART
	v_dot2_f32_f16 v33, v76, v84, v33
	;;#ASMEND
	;;#ASMSTART
	v_dot2_f32_f16 v33, v77, v85, v33
	;;#ASMEND
	;; [unrolled: 13-line block ×5, first 2 shown]
	;;#ASMSTART
	v_dot2_f32_f16 v37, v94, v82, v37
	;;#ASMEND
	;;#ASMSTART
	v_dot2_f32_f16 v37, v95, v83, v37
	;;#ASMEND
	;; [unrolled: 3-line block ×12, first 2 shown]
	ds_load_b128 v[74:77], v49 offset:80
	ds_load_b128 v[78:81], v40 offset:80
	;; [unrolled: 1-line block ×6, first 2 shown]
	s_wait_dscnt 0x4
	;;#ASMSTART
	v_dot2_f32_f16 v32, v74, v78, v32
	;;#ASMEND
	;;#ASMSTART
	v_dot2_f32_f16 v32, v75, v79, v32
	;;#ASMEND
	;;#ASMSTART
	v_dot2_f32_f16 v32, v76, v80, v32
	;;#ASMEND
	;;#ASMSTART
	v_dot2_f32_f16 v32, v77, v81, v32
	;;#ASMEND
	s_wait_dscnt 0x3
	;;#ASMSTART
	v_dot2_f32_f16 v33, v74, v82, v33
	;;#ASMEND
	;;#ASMSTART
	v_dot2_f32_f16 v33, v75, v83, v33
	;;#ASMEND
	;;#ASMSTART
	v_dot2_f32_f16 v33, v76, v84, v33
	;;#ASMEND
	;;#ASMSTART
	v_dot2_f32_f16 v33, v77, v85, v33
	;;#ASMEND
	;; [unrolled: 13-line block ×5, first 2 shown]
	;;#ASMSTART
	v_dot2_f32_f16 v37, v94, v82, v37
	;;#ASMEND
	;;#ASMSTART
	v_dot2_f32_f16 v37, v95, v83, v37
	;;#ASMEND
	;; [unrolled: 3-line block ×12, first 2 shown]
	ds_load_b128 v[74:77], v49 offset:96
	ds_load_b128 v[78:81], v40 offset:96
	;; [unrolled: 1-line block ×6, first 2 shown]
	s_wait_dscnt 0x4
	;;#ASMSTART
	v_dot2_f32_f16 v32, v74, v78, v32
	;;#ASMEND
	;;#ASMSTART
	v_dot2_f32_f16 v32, v75, v79, v32
	;;#ASMEND
	;;#ASMSTART
	v_dot2_f32_f16 v32, v76, v80, v32
	;;#ASMEND
	;;#ASMSTART
	v_dot2_f32_f16 v32, v77, v81, v32
	;;#ASMEND
	s_wait_dscnt 0x3
	;;#ASMSTART
	v_dot2_f32_f16 v33, v74, v82, v33
	;;#ASMEND
	;;#ASMSTART
	v_dot2_f32_f16 v33, v75, v83, v33
	;;#ASMEND
	;;#ASMSTART
	v_dot2_f32_f16 v33, v76, v84, v33
	;;#ASMEND
	;;#ASMSTART
	v_dot2_f32_f16 v33, v77, v85, v33
	;;#ASMEND
	;; [unrolled: 13-line block ×5, first 2 shown]
	;;#ASMSTART
	v_dot2_f32_f16 v37, v94, v82, v37
	;;#ASMEND
	;;#ASMSTART
	v_dot2_f32_f16 v37, v95, v83, v37
	;;#ASMEND
	;;#ASMSTART
	v_dot2_f32_f16 v37, v96, v84, v37
	;;#ASMEND
	;;#ASMSTART
	v_dot2_f32_f16 v37, v97, v85, v37
	;;#ASMEND
	;;#ASMSTART
	v_dot2_f32_f16 v71, v94, v86, v71
	;;#ASMEND
	;;#ASMSTART
	v_dot2_f32_f16 v71, v95, v87, v71
	;;#ASMEND
	;;#ASMSTART
	v_dot2_f32_f16 v71, v96, v88, v71
	;;#ASMEND
	;;#ASMSTART
	v_dot2_f32_f16 v71, v97, v89, v71
	;;#ASMEND
	;;#ASMSTART
	v_dot2_f32_f16 v72, v94, v90, v72
	;;#ASMEND
	;;#ASMSTART
	v_dot2_f32_f16 v72, v95, v91, v72
	;;#ASMEND
	;;#ASMSTART
	v_dot2_f32_f16 v72, v96, v92, v72
	;;#ASMEND
	;;#ASMSTART
	v_dot2_f32_f16 v72, v97, v93, v72
	;;#ASMEND
	ds_load_b128 v[74:77], v49 offset:112
	ds_load_b128 v[78:81], v40 offset:112
	;; [unrolled: 1-line block ×6, first 2 shown]
	s_wait_dscnt 0x4
	;;#ASMSTART
	v_dot2_f32_f16 v32, v74, v78, v32
	;;#ASMEND
	;;#ASMSTART
	v_dot2_f32_f16 v32, v75, v79, v32
	;;#ASMEND
	;;#ASMSTART
	v_dot2_f32_f16 v32, v76, v80, v32
	;;#ASMEND
	;;#ASMSTART
	v_dot2_f32_f16 v32, v77, v81, v32
	;;#ASMEND
	s_wait_dscnt 0x3
	;;#ASMSTART
	v_dot2_f32_f16 v33, v74, v82, v33
	;;#ASMEND
	;;#ASMSTART
	v_dot2_f32_f16 v33, v75, v83, v33
	;;#ASMEND
	;;#ASMSTART
	v_dot2_f32_f16 v33, v76, v84, v33
	;;#ASMEND
	;;#ASMSTART
	v_dot2_f32_f16 v33, v77, v85, v33
	;;#ASMEND
	s_wait_dscnt 0x2
	;;#ASMSTART
	v_dot2_f32_f16 v34, v74, v86, v34
	;;#ASMEND
	;;#ASMSTART
	v_dot2_f32_f16 v34, v75, v87, v34
	;;#ASMEND
	;;#ASMSTART
	v_dot2_f32_f16 v34, v76, v88, v34
	;;#ASMEND
	;;#ASMSTART
	v_dot2_f32_f16 v34, v77, v89, v34
	;;#ASMEND
	s_wait_dscnt 0x1
	;;#ASMSTART
	v_dot2_f32_f16 v35, v74, v90, v35
	;;#ASMEND
	;;#ASMSTART
	v_dot2_f32_f16 v35, v75, v91, v35
	;;#ASMEND
	;;#ASMSTART
	v_dot2_f32_f16 v35, v76, v92, v35
	;;#ASMEND
	;;#ASMSTART
	v_dot2_f32_f16 v35, v77, v93, v35
	;;#ASMEND
	s_wait_dscnt 0x0
	;;#ASMSTART
	v_dot2_f32_f16 v36, v94, v78, v36
	;;#ASMEND
	;;#ASMSTART
	v_dot2_f32_f16 v36, v95, v79, v36
	;;#ASMEND
	;;#ASMSTART
	v_dot2_f32_f16 v36, v96, v80, v36
	;;#ASMEND
	;;#ASMSTART
	v_dot2_f32_f16 v36, v97, v81, v36
	;;#ASMEND
	;;#ASMSTART
	v_dot2_f32_f16 v37, v94, v82, v37
	;;#ASMEND
	;;#ASMSTART
	v_dot2_f32_f16 v37, v95, v83, v37
	;;#ASMEND
	;; [unrolled: 3-line block ×12, first 2 shown]
	s_barrier_signal -1
	s_barrier_wait -1
	s_clause 0x1
	global_load_b128 v[74:77], v[0:1], off offset:128
	global_load_b128 v[78:81], v[2:3], off offset:128
	v_add_nc_u64_e32 v[6:7], v[6:7], v[26:27]
	s_wait_loadcnt 0x1
	ds_store_b128 v47, v[74:77]
	s_wait_loadcnt 0x0
	ds_store_b128 v48, v[78:81]
	s_wait_dscnt 0x0
	s_barrier_signal -1
	s_barrier_wait -1
	ds_load_b128 v[74:77], v49
	ds_load_b128 v[78:81], v40 offset:128
	ds_load_b128 v[82:85], v40 offset:512
	;; [unrolled: 1-line block ×5, first 2 shown]
	s_wait_dscnt 0x4
	;;#ASMSTART
	v_dot2_f32_f16 v32, v74, v78, v32
	;;#ASMEND
	;;#ASMSTART
	v_dot2_f32_f16 v32, v75, v79, v32
	;;#ASMEND
	;;#ASMSTART
	v_dot2_f32_f16 v32, v76, v80, v32
	;;#ASMEND
	;;#ASMSTART
	v_dot2_f32_f16 v32, v77, v81, v32
	;;#ASMEND
	s_wait_dscnt 0x3
	;;#ASMSTART
	v_dot2_f32_f16 v33, v74, v82, v33
	;;#ASMEND
	;;#ASMSTART
	v_dot2_f32_f16 v33, v75, v83, v33
	;;#ASMEND
	;;#ASMSTART
	v_dot2_f32_f16 v33, v76, v84, v33
	;;#ASMEND
	;;#ASMSTART
	v_dot2_f32_f16 v33, v77, v85, v33
	;;#ASMEND
	;; [unrolled: 13-line block ×5, first 2 shown]
	;;#ASMSTART
	v_dot2_f32_f16 v37, v94, v82, v37
	;;#ASMEND
	;;#ASMSTART
	v_dot2_f32_f16 v37, v95, v83, v37
	;;#ASMEND
	;; [unrolled: 3-line block ×12, first 2 shown]
	ds_load_b128 v[74:77], v49 offset:16
	ds_load_b128 v[78:81], v40 offset:144
	;; [unrolled: 1-line block ×6, first 2 shown]
	s_wait_dscnt 0x4
	;;#ASMSTART
	v_dot2_f32_f16 v32, v74, v78, v32
	;;#ASMEND
	;;#ASMSTART
	v_dot2_f32_f16 v32, v75, v79, v32
	;;#ASMEND
	;;#ASMSTART
	v_dot2_f32_f16 v32, v76, v80, v32
	;;#ASMEND
	;;#ASMSTART
	v_dot2_f32_f16 v32, v77, v81, v32
	;;#ASMEND
	s_wait_dscnt 0x3
	;;#ASMSTART
	v_dot2_f32_f16 v33, v74, v82, v33
	;;#ASMEND
	;;#ASMSTART
	v_dot2_f32_f16 v33, v75, v83, v33
	;;#ASMEND
	;;#ASMSTART
	v_dot2_f32_f16 v33, v76, v84, v33
	;;#ASMEND
	;;#ASMSTART
	v_dot2_f32_f16 v33, v77, v85, v33
	;;#ASMEND
	;; [unrolled: 13-line block ×5, first 2 shown]
	;;#ASMSTART
	v_dot2_f32_f16 v37, v94, v82, v37
	;;#ASMEND
	;;#ASMSTART
	v_dot2_f32_f16 v37, v95, v83, v37
	;;#ASMEND
	;;#ASMSTART
	v_dot2_f32_f16 v37, v96, v84, v37
	;;#ASMEND
	;;#ASMSTART
	v_dot2_f32_f16 v37, v97, v85, v37
	;;#ASMEND
	;;#ASMSTART
	v_dot2_f32_f16 v71, v94, v86, v71
	;;#ASMEND
	;;#ASMSTART
	v_dot2_f32_f16 v71, v95, v87, v71
	;;#ASMEND
	;;#ASMSTART
	v_dot2_f32_f16 v71, v96, v88, v71
	;;#ASMEND
	;;#ASMSTART
	v_dot2_f32_f16 v71, v97, v89, v71
	;;#ASMEND
	;;#ASMSTART
	v_dot2_f32_f16 v72, v94, v90, v72
	;;#ASMEND
	;;#ASMSTART
	v_dot2_f32_f16 v72, v95, v91, v72
	;;#ASMEND
	;;#ASMSTART
	v_dot2_f32_f16 v72, v96, v92, v72
	;;#ASMEND
	;;#ASMSTART
	v_dot2_f32_f16 v72, v97, v93, v72
	;;#ASMEND
	ds_load_b128 v[74:77], v49 offset:32
	ds_load_b128 v[78:81], v40 offset:160
	;; [unrolled: 1-line block ×6, first 2 shown]
	s_wait_dscnt 0x4
	;;#ASMSTART
	v_dot2_f32_f16 v32, v74, v78, v32
	;;#ASMEND
	;;#ASMSTART
	v_dot2_f32_f16 v32, v75, v79, v32
	;;#ASMEND
	;;#ASMSTART
	v_dot2_f32_f16 v32, v76, v80, v32
	;;#ASMEND
	;;#ASMSTART
	v_dot2_f32_f16 v32, v77, v81, v32
	;;#ASMEND
	s_wait_dscnt 0x3
	;;#ASMSTART
	v_dot2_f32_f16 v33, v74, v82, v33
	;;#ASMEND
	;;#ASMSTART
	v_dot2_f32_f16 v33, v75, v83, v33
	;;#ASMEND
	;;#ASMSTART
	v_dot2_f32_f16 v33, v76, v84, v33
	;;#ASMEND
	;;#ASMSTART
	v_dot2_f32_f16 v33, v77, v85, v33
	;;#ASMEND
	;; [unrolled: 13-line block ×5, first 2 shown]
	;;#ASMSTART
	v_dot2_f32_f16 v37, v94, v82, v37
	;;#ASMEND
	;;#ASMSTART
	v_dot2_f32_f16 v37, v95, v83, v37
	;;#ASMEND
	;; [unrolled: 3-line block ×12, first 2 shown]
	ds_load_b128 v[74:77], v49 offset:48
	ds_load_b128 v[78:81], v40 offset:176
	;; [unrolled: 1-line block ×6, first 2 shown]
	s_wait_dscnt 0x4
	;;#ASMSTART
	v_dot2_f32_f16 v32, v74, v78, v32
	;;#ASMEND
	;;#ASMSTART
	v_dot2_f32_f16 v32, v75, v79, v32
	;;#ASMEND
	;;#ASMSTART
	v_dot2_f32_f16 v32, v76, v80, v32
	;;#ASMEND
	;;#ASMSTART
	v_dot2_f32_f16 v32, v77, v81, v32
	;;#ASMEND
	s_wait_dscnt 0x3
	;;#ASMSTART
	v_dot2_f32_f16 v33, v74, v82, v33
	;;#ASMEND
	;;#ASMSTART
	v_dot2_f32_f16 v33, v75, v83, v33
	;;#ASMEND
	;;#ASMSTART
	v_dot2_f32_f16 v33, v76, v84, v33
	;;#ASMEND
	;;#ASMSTART
	v_dot2_f32_f16 v33, v77, v85, v33
	;;#ASMEND
	;; [unrolled: 13-line block ×5, first 2 shown]
	;;#ASMSTART
	v_dot2_f32_f16 v37, v94, v82, v37
	;;#ASMEND
	;;#ASMSTART
	v_dot2_f32_f16 v37, v95, v83, v37
	;;#ASMEND
	;;#ASMSTART
	v_dot2_f32_f16 v37, v96, v84, v37
	;;#ASMEND
	;;#ASMSTART
	v_dot2_f32_f16 v37, v97, v85, v37
	;;#ASMEND
	;;#ASMSTART
	v_dot2_f32_f16 v71, v94, v86, v71
	;;#ASMEND
	;;#ASMSTART
	v_dot2_f32_f16 v71, v95, v87, v71
	;;#ASMEND
	;;#ASMSTART
	v_dot2_f32_f16 v71, v96, v88, v71
	;;#ASMEND
	;;#ASMSTART
	v_dot2_f32_f16 v71, v97, v89, v71
	;;#ASMEND
	;;#ASMSTART
	v_dot2_f32_f16 v72, v94, v90, v72
	;;#ASMEND
	;;#ASMSTART
	v_dot2_f32_f16 v72, v95, v91, v72
	;;#ASMEND
	;;#ASMSTART
	v_dot2_f32_f16 v72, v96, v92, v72
	;;#ASMEND
	;;#ASMSTART
	v_dot2_f32_f16 v72, v97, v93, v72
	;;#ASMEND
	ds_load_b128 v[74:77], v49 offset:64
	ds_load_b128 v[78:81], v40 offset:192
	ds_load_b128 v[82:85], v40 offset:576
	ds_load_b128 v[86:89], v40 offset:960
	ds_load_b128 v[90:93], v40 offset:1344
	ds_load_b128 v[94:97], v49 offset:4672
	s_wait_dscnt 0x4
	;;#ASMSTART
	v_dot2_f32_f16 v32, v74, v78, v32
	;;#ASMEND
	;;#ASMSTART
	v_dot2_f32_f16 v32, v75, v79, v32
	;;#ASMEND
	;;#ASMSTART
	v_dot2_f32_f16 v32, v76, v80, v32
	;;#ASMEND
	;;#ASMSTART
	v_dot2_f32_f16 v32, v77, v81, v32
	;;#ASMEND
	s_wait_dscnt 0x3
	;;#ASMSTART
	v_dot2_f32_f16 v33, v74, v82, v33
	;;#ASMEND
	;;#ASMSTART
	v_dot2_f32_f16 v33, v75, v83, v33
	;;#ASMEND
	;;#ASMSTART
	v_dot2_f32_f16 v33, v76, v84, v33
	;;#ASMEND
	;;#ASMSTART
	v_dot2_f32_f16 v33, v77, v85, v33
	;;#ASMEND
	;; [unrolled: 13-line block ×5, first 2 shown]
	;;#ASMSTART
	v_dot2_f32_f16 v37, v94, v82, v37
	;;#ASMEND
	;;#ASMSTART
	v_dot2_f32_f16 v37, v95, v83, v37
	;;#ASMEND
	;; [unrolled: 3-line block ×12, first 2 shown]
	ds_load_b128 v[74:77], v49 offset:80
	ds_load_b128 v[78:81], v40 offset:208
	;; [unrolled: 1-line block ×6, first 2 shown]
	s_wait_dscnt 0x4
	;;#ASMSTART
	v_dot2_f32_f16 v32, v74, v78, v32
	;;#ASMEND
	;;#ASMSTART
	v_dot2_f32_f16 v32, v75, v79, v32
	;;#ASMEND
	;;#ASMSTART
	v_dot2_f32_f16 v32, v76, v80, v32
	;;#ASMEND
	;;#ASMSTART
	v_dot2_f32_f16 v32, v77, v81, v32
	;;#ASMEND
	s_wait_dscnt 0x3
	;;#ASMSTART
	v_dot2_f32_f16 v33, v74, v82, v33
	;;#ASMEND
	;;#ASMSTART
	v_dot2_f32_f16 v33, v75, v83, v33
	;;#ASMEND
	;;#ASMSTART
	v_dot2_f32_f16 v33, v76, v84, v33
	;;#ASMEND
	;;#ASMSTART
	v_dot2_f32_f16 v33, v77, v85, v33
	;;#ASMEND
	;; [unrolled: 13-line block ×5, first 2 shown]
	;;#ASMSTART
	v_dot2_f32_f16 v37, v94, v82, v37
	;;#ASMEND
	;;#ASMSTART
	v_dot2_f32_f16 v37, v95, v83, v37
	;;#ASMEND
	;; [unrolled: 3-line block ×12, first 2 shown]
	ds_load_b128 v[74:77], v49 offset:96
	ds_load_b128 v[78:81], v40 offset:224
	;; [unrolled: 1-line block ×6, first 2 shown]
	s_wait_dscnt 0x4
	;;#ASMSTART
	v_dot2_f32_f16 v32, v74, v78, v32
	;;#ASMEND
	;;#ASMSTART
	v_dot2_f32_f16 v32, v75, v79, v32
	;;#ASMEND
	;;#ASMSTART
	v_dot2_f32_f16 v32, v76, v80, v32
	;;#ASMEND
	;;#ASMSTART
	v_dot2_f32_f16 v32, v77, v81, v32
	;;#ASMEND
	s_wait_dscnt 0x3
	;;#ASMSTART
	v_dot2_f32_f16 v33, v74, v82, v33
	;;#ASMEND
	;;#ASMSTART
	v_dot2_f32_f16 v33, v75, v83, v33
	;;#ASMEND
	;;#ASMSTART
	v_dot2_f32_f16 v33, v76, v84, v33
	;;#ASMEND
	;;#ASMSTART
	v_dot2_f32_f16 v33, v77, v85, v33
	;;#ASMEND
	;; [unrolled: 13-line block ×5, first 2 shown]
	;;#ASMSTART
	v_dot2_f32_f16 v37, v94, v82, v37
	;;#ASMEND
	;;#ASMSTART
	v_dot2_f32_f16 v37, v95, v83, v37
	;;#ASMEND
	;; [unrolled: 3-line block ×12, first 2 shown]
	ds_load_b128 v[74:77], v49 offset:112
	ds_load_b128 v[78:81], v40 offset:240
	;; [unrolled: 1-line block ×6, first 2 shown]
	s_wait_dscnt 0x4
	;;#ASMSTART
	v_dot2_f32_f16 v32, v74, v78, v32
	;;#ASMEND
	;;#ASMSTART
	v_dot2_f32_f16 v32, v75, v79, v32
	;;#ASMEND
	;;#ASMSTART
	v_dot2_f32_f16 v32, v76, v80, v32
	;;#ASMEND
	;;#ASMSTART
	v_dot2_f32_f16 v32, v77, v81, v32
	;;#ASMEND
	s_wait_dscnt 0x3
	;;#ASMSTART
	v_dot2_f32_f16 v33, v74, v82, v33
	;;#ASMEND
	;;#ASMSTART
	v_dot2_f32_f16 v33, v75, v83, v33
	;;#ASMEND
	;;#ASMSTART
	v_dot2_f32_f16 v33, v76, v84, v33
	;;#ASMEND
	;;#ASMSTART
	v_dot2_f32_f16 v33, v77, v85, v33
	;;#ASMEND
	;; [unrolled: 13-line block ×5, first 2 shown]
	;;#ASMSTART
	v_dot2_f32_f16 v37, v94, v82, v37
	;;#ASMEND
	;;#ASMSTART
	v_dot2_f32_f16 v37, v95, v83, v37
	;;#ASMEND
	;; [unrolled: 3-line block ×12, first 2 shown]
	s_barrier_signal -1
	s_barrier_wait -1
	s_clause 0x1
	global_load_b128 v[74:77], v[0:1], off offset:256
	global_load_b128 v[78:81], v[2:3], off offset:256
	s_wait_loadcnt 0x1
	ds_store_b128 v47, v[74:77]
	s_wait_loadcnt 0x0
	ds_store_b128 v48, v[78:81]
	s_wait_dscnt 0x0
	s_barrier_signal -1
	s_barrier_wait -1
	ds_load_b128 v[0:3], v49
	ds_load_b128 v[74:77], v40 offset:256
	ds_load_b128 v[78:81], v40 offset:640
	;; [unrolled: 1-line block ×5, first 2 shown]
	s_wait_dscnt 0x4
	;;#ASMSTART
	v_dot2_f32_f16 v32, v0, v74, v32
	;;#ASMEND
	;;#ASMSTART
	v_dot2_f32_f16 v32, v1, v75, v32
	;;#ASMEND
	;;#ASMSTART
	v_dot2_f32_f16 v32, v2, v76, v32
	;;#ASMEND
	;;#ASMSTART
	v_dot2_f32_f16 v32, v3, v77, v32
	;;#ASMEND
	s_wait_dscnt 0x3
	;;#ASMSTART
	v_dot2_f32_f16 v33, v0, v78, v33
	;;#ASMEND
	;;#ASMSTART
	v_dot2_f32_f16 v33, v1, v79, v33
	;;#ASMEND
	;;#ASMSTART
	v_dot2_f32_f16 v33, v2, v80, v33
	;;#ASMEND
	;;#ASMSTART
	v_dot2_f32_f16 v33, v3, v81, v33
	;;#ASMEND
	s_wait_dscnt 0x2
	;;#ASMSTART
	v_dot2_f32_f16 v34, v0, v82, v34
	;;#ASMEND
	;;#ASMSTART
	v_dot2_f32_f16 v34, v1, v83, v34
	;;#ASMEND
	;;#ASMSTART
	v_dot2_f32_f16 v34, v2, v84, v34
	;;#ASMEND
	;;#ASMSTART
	v_dot2_f32_f16 v34, v3, v85, v34
	;;#ASMEND
	s_wait_dscnt 0x1
	;;#ASMSTART
	v_dot2_f32_f16 v35, v0, v86, v35
	;;#ASMEND
	;;#ASMSTART
	v_dot2_f32_f16 v35, v1, v87, v35
	;;#ASMEND
	;;#ASMSTART
	v_dot2_f32_f16 v35, v2, v88, v35
	;;#ASMEND
	;;#ASMSTART
	v_dot2_f32_f16 v35, v3, v89, v35
	;;#ASMEND
	s_wait_dscnt 0x0
	;;#ASMSTART
	v_dot2_f32_f16 v36, v90, v74, v36
	;;#ASMEND
	;;#ASMSTART
	v_dot2_f32_f16 v36, v91, v75, v36
	;;#ASMEND
	;;#ASMSTART
	v_dot2_f32_f16 v36, v92, v76, v36
	;;#ASMEND
	;;#ASMSTART
	v_dot2_f32_f16 v36, v93, v77, v36
	;;#ASMEND
	;;#ASMSTART
	v_dot2_f32_f16 v37, v90, v78, v37
	;;#ASMEND
	;;#ASMSTART
	v_dot2_f32_f16 v37, v91, v79, v37
	;;#ASMEND
	;; [unrolled: 3-line block ×12, first 2 shown]
	ds_load_b128 v[0:3], v49 offset:16
	ds_load_b128 v[74:77], v40 offset:272
	;; [unrolled: 1-line block ×6, first 2 shown]
	s_wait_dscnt 0x4
	;;#ASMSTART
	v_dot2_f32_f16 v32, v0, v74, v32
	;;#ASMEND
	;;#ASMSTART
	v_dot2_f32_f16 v32, v1, v75, v32
	;;#ASMEND
	;;#ASMSTART
	v_dot2_f32_f16 v32, v2, v76, v32
	;;#ASMEND
	;;#ASMSTART
	v_dot2_f32_f16 v32, v3, v77, v32
	;;#ASMEND
	s_wait_dscnt 0x3
	;;#ASMSTART
	v_dot2_f32_f16 v33, v0, v78, v33
	;;#ASMEND
	;;#ASMSTART
	v_dot2_f32_f16 v33, v1, v79, v33
	;;#ASMEND
	;;#ASMSTART
	v_dot2_f32_f16 v33, v2, v80, v33
	;;#ASMEND
	;;#ASMSTART
	v_dot2_f32_f16 v33, v3, v81, v33
	;;#ASMEND
	s_wait_dscnt 0x2
	;;#ASMSTART
	v_dot2_f32_f16 v34, v0, v82, v34
	;;#ASMEND
	;;#ASMSTART
	v_dot2_f32_f16 v34, v1, v83, v34
	;;#ASMEND
	;;#ASMSTART
	v_dot2_f32_f16 v34, v2, v84, v34
	;;#ASMEND
	;;#ASMSTART
	v_dot2_f32_f16 v34, v3, v85, v34
	;;#ASMEND
	s_wait_dscnt 0x1
	;;#ASMSTART
	v_dot2_f32_f16 v35, v0, v86, v35
	;;#ASMEND
	;;#ASMSTART
	v_dot2_f32_f16 v35, v1, v87, v35
	;;#ASMEND
	;;#ASMSTART
	v_dot2_f32_f16 v35, v2, v88, v35
	;;#ASMEND
	;;#ASMSTART
	v_dot2_f32_f16 v35, v3, v89, v35
	;;#ASMEND
	s_wait_dscnt 0x0
	;;#ASMSTART
	v_dot2_f32_f16 v36, v90, v74, v36
	;;#ASMEND
	;;#ASMSTART
	v_dot2_f32_f16 v36, v91, v75, v36
	;;#ASMEND
	;;#ASMSTART
	v_dot2_f32_f16 v36, v92, v76, v36
	;;#ASMEND
	;;#ASMSTART
	v_dot2_f32_f16 v36, v93, v77, v36
	;;#ASMEND
	;;#ASMSTART
	v_dot2_f32_f16 v37, v90, v78, v37
	;;#ASMEND
	;;#ASMSTART
	v_dot2_f32_f16 v37, v91, v79, v37
	;;#ASMEND
	;; [unrolled: 3-line block ×12, first 2 shown]
	ds_load_b128 v[0:3], v49 offset:32
	ds_load_b128 v[74:77], v40 offset:288
	;; [unrolled: 1-line block ×6, first 2 shown]
	s_wait_dscnt 0x4
	;;#ASMSTART
	v_dot2_f32_f16 v32, v0, v74, v32
	;;#ASMEND
	;;#ASMSTART
	v_dot2_f32_f16 v32, v1, v75, v32
	;;#ASMEND
	;;#ASMSTART
	v_dot2_f32_f16 v32, v2, v76, v32
	;;#ASMEND
	;;#ASMSTART
	v_dot2_f32_f16 v32, v3, v77, v32
	;;#ASMEND
	s_wait_dscnt 0x3
	;;#ASMSTART
	v_dot2_f32_f16 v33, v0, v78, v33
	;;#ASMEND
	;;#ASMSTART
	v_dot2_f32_f16 v33, v1, v79, v33
	;;#ASMEND
	;;#ASMSTART
	v_dot2_f32_f16 v33, v2, v80, v33
	;;#ASMEND
	;;#ASMSTART
	v_dot2_f32_f16 v33, v3, v81, v33
	;;#ASMEND
	;; [unrolled: 13-line block ×5, first 2 shown]
	;;#ASMSTART
	v_dot2_f32_f16 v37, v90, v78, v37
	;;#ASMEND
	;;#ASMSTART
	v_dot2_f32_f16 v37, v91, v79, v37
	;;#ASMEND
	;; [unrolled: 3-line block ×12, first 2 shown]
	ds_load_b128 v[0:3], v49 offset:48
	ds_load_b128 v[74:77], v40 offset:304
	;; [unrolled: 1-line block ×6, first 2 shown]
	s_wait_dscnt 0x4
	;;#ASMSTART
	v_dot2_f32_f16 v32, v0, v74, v32
	;;#ASMEND
	;;#ASMSTART
	v_dot2_f32_f16 v32, v1, v75, v32
	;;#ASMEND
	;;#ASMSTART
	v_dot2_f32_f16 v32, v2, v76, v32
	;;#ASMEND
	;;#ASMSTART
	v_dot2_f32_f16 v32, v3, v77, v32
	;;#ASMEND
	s_wait_dscnt 0x3
	;;#ASMSTART
	v_dot2_f32_f16 v33, v0, v78, v33
	;;#ASMEND
	;;#ASMSTART
	v_dot2_f32_f16 v33, v1, v79, v33
	;;#ASMEND
	;;#ASMSTART
	v_dot2_f32_f16 v33, v2, v80, v33
	;;#ASMEND
	;;#ASMSTART
	v_dot2_f32_f16 v33, v3, v81, v33
	;;#ASMEND
	;; [unrolled: 13-line block ×5, first 2 shown]
	;;#ASMSTART
	v_dot2_f32_f16 v37, v90, v78, v37
	;;#ASMEND
	;;#ASMSTART
	v_dot2_f32_f16 v37, v91, v79, v37
	;;#ASMEND
	;; [unrolled: 3-line block ×12, first 2 shown]
	ds_load_b128 v[0:3], v49 offset:64
	ds_load_b128 v[74:77], v40 offset:320
	;; [unrolled: 1-line block ×6, first 2 shown]
	s_wait_dscnt 0x4
	;;#ASMSTART
	v_dot2_f32_f16 v32, v0, v74, v32
	;;#ASMEND
	;;#ASMSTART
	v_dot2_f32_f16 v32, v1, v75, v32
	;;#ASMEND
	;;#ASMSTART
	v_dot2_f32_f16 v32, v2, v76, v32
	;;#ASMEND
	;;#ASMSTART
	v_dot2_f32_f16 v32, v3, v77, v32
	;;#ASMEND
	s_wait_dscnt 0x3
	;;#ASMSTART
	v_dot2_f32_f16 v33, v0, v78, v33
	;;#ASMEND
	;;#ASMSTART
	v_dot2_f32_f16 v33, v1, v79, v33
	;;#ASMEND
	;;#ASMSTART
	v_dot2_f32_f16 v33, v2, v80, v33
	;;#ASMEND
	;;#ASMSTART
	v_dot2_f32_f16 v33, v3, v81, v33
	;;#ASMEND
	;; [unrolled: 13-line block ×5, first 2 shown]
	;;#ASMSTART
	v_dot2_f32_f16 v37, v90, v78, v37
	;;#ASMEND
	;;#ASMSTART
	v_dot2_f32_f16 v37, v91, v79, v37
	;;#ASMEND
	;; [unrolled: 3-line block ×12, first 2 shown]
	ds_load_b128 v[0:3], v49 offset:80
	ds_load_b128 v[74:77], v40 offset:336
	;; [unrolled: 1-line block ×6, first 2 shown]
	s_wait_dscnt 0x4
	;;#ASMSTART
	v_dot2_f32_f16 v32, v0, v74, v32
	;;#ASMEND
	;;#ASMSTART
	v_dot2_f32_f16 v32, v1, v75, v32
	;;#ASMEND
	;;#ASMSTART
	v_dot2_f32_f16 v32, v2, v76, v32
	;;#ASMEND
	;;#ASMSTART
	v_dot2_f32_f16 v32, v3, v77, v32
	;;#ASMEND
	s_wait_dscnt 0x3
	;;#ASMSTART
	v_dot2_f32_f16 v33, v0, v78, v33
	;;#ASMEND
	;;#ASMSTART
	v_dot2_f32_f16 v33, v1, v79, v33
	;;#ASMEND
	;;#ASMSTART
	v_dot2_f32_f16 v33, v2, v80, v33
	;;#ASMEND
	;;#ASMSTART
	v_dot2_f32_f16 v33, v3, v81, v33
	;;#ASMEND
	;; [unrolled: 13-line block ×5, first 2 shown]
	;;#ASMSTART
	v_dot2_f32_f16 v37, v90, v78, v37
	;;#ASMEND
	;;#ASMSTART
	v_dot2_f32_f16 v37, v91, v79, v37
	;;#ASMEND
	;; [unrolled: 3-line block ×12, first 2 shown]
	ds_load_b128 v[0:3], v49 offset:96
	ds_load_b128 v[74:77], v40 offset:352
	;; [unrolled: 1-line block ×6, first 2 shown]
	s_wait_dscnt 0x4
	;;#ASMSTART
	v_dot2_f32_f16 v32, v0, v74, v32
	;;#ASMEND
	;;#ASMSTART
	v_dot2_f32_f16 v32, v1, v75, v32
	;;#ASMEND
	;;#ASMSTART
	v_dot2_f32_f16 v32, v2, v76, v32
	;;#ASMEND
	;;#ASMSTART
	v_dot2_f32_f16 v32, v3, v77, v32
	;;#ASMEND
	s_wait_dscnt 0x3
	;;#ASMSTART
	v_dot2_f32_f16 v33, v0, v78, v33
	;;#ASMEND
	;;#ASMSTART
	v_dot2_f32_f16 v33, v1, v79, v33
	;;#ASMEND
	;;#ASMSTART
	v_dot2_f32_f16 v33, v2, v80, v33
	;;#ASMEND
	;;#ASMSTART
	v_dot2_f32_f16 v33, v3, v81, v33
	;;#ASMEND
	;; [unrolled: 13-line block ×5, first 2 shown]
	;;#ASMSTART
	v_dot2_f32_f16 v37, v90, v78, v37
	;;#ASMEND
	;;#ASMSTART
	v_dot2_f32_f16 v37, v91, v79, v37
	;;#ASMEND
	;; [unrolled: 3-line block ×12, first 2 shown]
	ds_load_b128 v[0:3], v49 offset:112
	ds_load_b128 v[74:77], v40 offset:368
	;; [unrolled: 1-line block ×6, first 2 shown]
	s_wait_dscnt 0x4
	;;#ASMSTART
	v_dot2_f32_f16 v32, v0, v74, v32
	;;#ASMEND
	;;#ASMSTART
	v_dot2_f32_f16 v32, v1, v75, v32
	;;#ASMEND
	;;#ASMSTART
	v_dot2_f32_f16 v32, v2, v76, v32
	;;#ASMEND
	;;#ASMSTART
	v_dot2_f32_f16 v32, v3, v77, v32
	;;#ASMEND
	s_wait_dscnt 0x3
	;;#ASMSTART
	v_dot2_f32_f16 v33, v0, v78, v33
	;;#ASMEND
	;;#ASMSTART
	v_dot2_f32_f16 v33, v1, v79, v33
	;;#ASMEND
	;;#ASMSTART
	v_dot2_f32_f16 v33, v2, v80, v33
	;;#ASMEND
	;;#ASMSTART
	v_dot2_f32_f16 v33, v3, v81, v33
	;;#ASMEND
	;; [unrolled: 13-line block ×5, first 2 shown]
	;;#ASMSTART
	v_dot2_f32_f16 v37, v90, v78, v37
	;;#ASMEND
	;;#ASMSTART
	v_dot2_f32_f16 v37, v91, v79, v37
	;;#ASMEND
	;; [unrolled: 3-line block ×12, first 2 shown]
	s_clause 0x1
	global_load_u16 v0, v8, s[34:35] scale_offset
	global_load_u16 v1, v8, s[34:35] offset:64 scale_offset
	s_wait_loadcnt 0x0
	s_barrier_signal -1
	s_barrier_wait -1
	v_cvt_f32_f16_e32 v0, v0
	v_cvt_f32_f16_e32 v1, v1
	v_lshlrev_b32_e32 v9, 2, v4
	v_add_nc_u64_e32 v[4:5], s[2:3], v[24:25]
	s_wait_xcnt 0x0
	s_delay_alu instid0(VALU_DEP_3) | instskip(NEXT) | instid1(VALU_DEP_2)
	v_dual_add_f32 v8, v34, v0 :: v_dual_add_f32 v34, v72, v1
	v_add_nc_u64_e32 v[4:5], v[4:5], v[26:27]
	s_clause 0x1
	global_load_b128 v[74:77], v[4:5], off
	global_load_b128 v[78:81], v[6:7], off
	s_wait_xcnt 0x0
	v_dual_add_f32 v4, v32, v0 :: v_dual_add_f32 v6, v33, v0
	v_dual_add_f32 v5, v36, v1 :: v_dual_add_f32 v7, v37, v1
	v_add_f32_e32 v32, v71, v1
	s_delay_alu instid0(VALU_DEP_3) | instskip(NEXT) | instid1(VALU_DEP_3)
	v_dual_add_f32 v33, v35, v0 :: v_dual_add_f32 v2, 0x40051340, v6
	v_dual_add_f32 v0, 0x40051340, v4 :: v_dual_add_f32 v1, 0x40051340, v5
	s_delay_alu instid0(VALU_DEP_3) | instskip(SKIP_1) | instid1(VALU_DEP_3)
	v_dual_add_f32 v3, 0x40051340, v7 :: v_dual_add_f32 v36, 0x40051340, v32
	v_add_f32_e32 v35, 0x40051340, v8
	v_max3_num_f32 v0, v67, v0, v1
	s_delay_alu instid0(VALU_DEP_3) | instskip(NEXT) | instid1(VALU_DEP_3)
	v_max3_num_f32 v1, v68, v2, v3
	v_max3_num_f32 v2, v69, v35, v36
	ds_bpermute_b32 v35, v31, v0
	ds_bpermute_b32 v36, v31, v1
	v_add_f32_e32 v37, 0x40051340, v33
	s_wait_dscnt 0x1
	v_max_num_f32_e32 v35, v35, v35
	s_wait_dscnt 0x0
	v_dual_add_f32 v71, 0x40051340, v34 :: v_dual_max_num_f32 v36, v36, v36
	s_delay_alu instid0(VALU_DEP_2) | instskip(NEXT) | instid1(VALU_DEP_2)
	v_max_num_f32_e32 v0, v0, v35
	v_max3_num_f32 v3, v70, v37, v71
	ds_bpermute_b32 v37, v31, v2
	v_max_num_f32_e32 v1, v1, v36
	ds_bpermute_b32 v31, v31, v3
	ds_bpermute_b32 v35, v30, v1
	s_wait_dscnt 0x1
	v_dual_max_num_f32 v37, v37, v37 :: v_dual_max_num_f32 v31, v31, v31
	s_delay_alu instid0(VALU_DEP_1)
	v_max_num_f32_e32 v2, v2, v37
	ds_bpermute_b32 v36, v30, v2
	v_max_num_f32_e32 v3, v3, v31
	ds_bpermute_b32 v31, v30, v0
	s_wait_dscnt 0x1
	v_max_num_f32_e32 v36, v36, v36
	ds_bpermute_b32 v30, v30, v3
	s_wait_dscnt 0x1
	v_max_num_f32_e32 v31, v31, v31
	v_dual_max_num_f32 v35, v35, v35 :: v_dual_max_num_f32 v2, v2, v36
	s_wait_dscnt 0x0
	s_delay_alu instid0(VALU_DEP_2) | instskip(NEXT) | instid1(VALU_DEP_1)
	v_dual_max_num_f32 v30, v30, v30 :: v_dual_max_num_f32 v0, v0, v31
	v_max_num_f32_e32 v3, v3, v30
	ds_bpermute_b32 v30, v11, v0
	v_max_num_f32_e32 v1, v1, v35
	ds_bpermute_b32 v35, v11, v2
	s_wait_dscnt 0x1
	v_max_num_f32_e32 v30, v30, v30
	ds_bpermute_b32 v31, v11, v1
	ds_bpermute_b32 v11, v11, v3
	s_wait_dscnt 0x1
	v_dual_max_num_f32 v0, v0, v30 :: v_dual_max_num_f32 v31, v31, v31
	s_wait_dscnt 0x0
	v_max_num_f32_e32 v11, v11, v11
	s_delay_alu instid0(VALU_DEP_2) | instskip(NEXT) | instid1(VALU_DEP_2)
	v_max_num_f32_e32 v1, v1, v31
	v_max_num_f32_e32 v3, v3, v11
	ds_bpermute_b32 v11, v10, v0
	ds_bpermute_b32 v30, v10, v1
	v_max_num_f32_e32 v35, v35, v35
	s_wait_dscnt 0x0
	v_dual_max_num_f32 v11, v11, v11 :: v_dual_max_num_f32 v30, v30, v30
	s_delay_alu instid0(VALU_DEP_2) | instskip(NEXT) | instid1(VALU_DEP_2)
	v_max_num_f32_e32 v2, v2, v35
	v_max_num_f32_e32 v0, v0, v11
	ds_bpermute_b32 v31, v10, v2
	ds_bpermute_b32 v10, v10, v3
	s_wait_dscnt 0x0
	v_dual_max_num_f32 v31, v31, v31 :: v_dual_max_num_f32 v10, v10, v10
	s_delay_alu instid0(VALU_DEP_1) | instskip(NEXT) | instid1(VALU_DEP_2)
	v_dual_max_num_f32 v1, v1, v30 :: v_dual_max_num_f32 v2, v2, v31
	v_max_num_f32_e32 v3, v3, v10
	ds_bpermute_b32 v10, v9, v0
	ds_bpermute_b32 v11, v9, v1
	;; [unrolled: 1-line block ×4, first 2 shown]
	s_wait_dscnt 0x2
	v_dual_max_num_f32 v10, v10, v10 :: v_dual_max_num_f32 v11, v11, v11
	s_wait_dscnt 0x0
	v_dual_max_num_f32 v30, v30, v30 :: v_dual_max_num_f32 v9, v9, v9
	s_delay_alu instid0(VALU_DEP_2) | instskip(NEXT) | instid1(VALU_DEP_2)
	v_dual_max_num_f32 v0, v0, v10 :: v_dual_max_num_f32 v1, v1, v11
	v_dual_max_num_f32 v2, v2, v30 :: v_dual_max_num_f32 v3, v3, v9
	s_delay_alu instid0(VALU_DEP_2) | instskip(NEXT) | instid1(VALU_DEP_3)
	v_dual_sub_f32 v4, v4, v0 :: v_dual_sub_f32 v5, v5, v0
	v_dual_sub_f32 v6, v6, v1 :: v_dual_sub_f32 v7, v7, v1
	s_delay_alu instid0(VALU_DEP_3) | instskip(NEXT) | instid1(VALU_DEP_3)
	v_dual_sub_f32 v8, v8, v2 :: v_dual_sub_f32 v11, v34, v3
	v_dual_mul_f32 v30, 0x3fb8aa3b, v4 :: v_dual_mul_f32 v31, 0x3fb8aa3b, v5
	v_dual_sub_f32 v9, v32, v2 :: v_dual_sub_f32 v10, v33, v3
	s_delay_alu instid0(VALU_DEP_4) | instskip(NEXT) | instid1(VALU_DEP_4)
	v_dual_mul_f32 v32, 0x3fb8aa3b, v6 :: v_dual_mul_f32 v33, 0x3fb8aa3b, v7
	v_mul_f32_e32 v34, 0x3fb8aa3b, v8
	s_delay_alu instid0(VALU_DEP_4)
	v_fma_f32 v71, 0x3fb8aa3b, v4, -v30
	v_fma_f32 v72, 0x3fb8aa3b, v5, -v31
	v_rndne_f32_e32 v87, v30
	v_rndne_f32_e32 v88, v31
	v_fma_f32 v73, 0x3fb8aa3b, v6, -v32
	v_fma_f32 v82, 0x3fb8aa3b, v7, -v33
	v_rndne_f32_e32 v89, v32
	v_dual_fmac_f32 v71, 0x32a5705f, v4 :: v_dual_fmac_f32 v72, 0x32a5705f, v5
	v_dual_sub_f32 v30, v30, v87 :: v_dual_sub_f32 v31, v31, v88
	v_dual_mul_f32 v35, 0x3fb8aa3b, v9 :: v_dual_mul_f32 v36, 0x3fb8aa3b, v10
	s_delay_alu instid0(VALU_DEP_4) | instskip(SKIP_1) | instid1(VALU_DEP_4)
	v_dual_mul_f32 v37, 0x3fb8aa3b, v11 :: v_dual_sub_f32 v32, v32, v89
	v_dual_fmac_f32 v73, 0x32a5705f, v6 :: v_dual_fmac_f32 v82, 0x32a5705f, v7
	v_add_f32_e32 v31, v31, v72
	v_fma_f32 v83, 0x3fb8aa3b, v8, -v34
	v_fma_f32 v84, 0x3fb8aa3b, v9, -v35
	;; [unrolled: 1-line block ×4, first 2 shown]
	v_rndne_f32_e32 v90, v33
	v_rndne_f32_e32 v91, v34
	;; [unrolled: 1-line block ×5, first 2 shown]
	v_add_f32_e32 v32, v32, v73
	v_exp_f32_e32 v31, v31
	v_dual_fmac_f32 v83, 0x32a5705f, v8 :: v_dual_fmac_f32 v84, 0x32a5705f, v9
	v_dual_fmac_f32 v85, 0x32a5705f, v10 :: v_dual_fmac_f32 v86, 0x32a5705f, v11
	v_dual_sub_f32 v33, v33, v90 :: v_dual_sub_f32 v34, v34, v91
	v_dual_sub_f32 v35, v35, v92 :: v_dual_sub_f32 v36, v36, v93
	v_dual_sub_f32 v37, v37, v94 :: v_dual_add_f32 v30, v30, v71
	v_cvt_i32_f32_e32 v88, v88
	s_delay_alu instid0(VALU_DEP_4) | instskip(NEXT) | instid1(VALU_DEP_4)
	v_dual_add_f32 v33, v33, v82 :: v_dual_add_f32 v34, v34, v83
	v_dual_add_f32 v35, v35, v84 :: v_dual_add_f32 v36, v36, v85
	s_delay_alu instid0(VALU_DEP_3)
	v_ldexp_f32 v31, v31, v88
	v_cmp_ngt_f32_e64 s8, 0xc2ce8ed0, v5
	v_add_f32_e32 v37, v37, v86
	v_exp_f32_e32 v30, v30
	v_exp_f32_e32 v32, v32
	;; [unrolled: 1-line block ×6, first 2 shown]
	v_cndmask_b32_e64 v71, 0, v31, s8
	v_exp_f32_e32 v37, v37
	v_cvt_i32_f32_e32 v87, v87
	v_cvt_i32_f32_e32 v89, v89
	;; [unrolled: 1-line block ×7, first 2 shown]
	v_ldexp_f32 v32, v32, v89
	v_cmp_ngt_f32_e32 vcc_lo, 0xc2ce8ed0, v6
	v_ldexp_f32 v33, v33, v90
	v_cmp_ngt_f32_e64 s2, 0xc2ce8ed0, v7
	v_ldexp_f32 v34, v34, v91
	v_cmp_ngt_f32_e64 s3, 0xc2ce8ed0, v8
	;; [unrolled: 2-line block ×6, first 2 shown]
	v_cmp_nlt_f32_e64 s8, 0x42b17218, v5
	v_cndmask_b32_e32 v5, 0, v32, vcc_lo
	v_cmp_nlt_f32_e32 vcc_lo, 0x42b17218, v6
	v_cndmask_b32_e64 v6, 0, v33, s2
	v_cmp_nlt_f32_e64 s2, 0x42b17218, v7
	v_cndmask_b32_e64 v7, 0, v34, s3
	v_cmp_nlt_f32_e64 s3, 0x42b17218, v8
	v_cndmask_b32_e64 v8, 0, v35, s4
	v_cmp_nlt_f32_e64 s4, 0x42b17218, v9
	v_dual_cndmask_b32 v9, 0, v36, s5 :: v_dual_cndmask_b32 v30, 0, v30, s7
	v_cmp_nlt_f32_e64 s5, 0x42b17218, v10
	v_cndmask_b32_e64 v10, 0, v37, s6
	v_cmp_nlt_f32_e64 s6, 0x42b17218, v11
	v_cmp_nlt_f32_e64 s7, 0x42b17218, v4
	v_cndmask_b32_e32 v31, 0x7f800000, v5, vcc_lo
	v_cndmask_b32_e64 v32, 0x7f800000, v7, s3
	v_cndmask_b32_e64 v33, 0x7f800000, v9, s5
	;; [unrolled: 1-line block ×7, first 2 shown]
	v_cvt_pk_f16_f32 v5, v32, v33
	v_cvt_pk_f16_f32 v4, v30, v31
	s_delay_alu instid0(VALU_DEP_4) | instskip(NEXT) | instid1(VALU_DEP_4)
	v_cvt_pk_f16_f32 v6, v36, v37
	v_cvt_pk_f16_f32 v7, v34, v35
	ds_store_2addr_b64 v54, v[4:5], v[6:7] offset1:32
	s_wait_loadcnt 0x1
	ds_store_b128 v52, v[74:77]
	s_wait_loadcnt 0x0
	ds_store_b128 v53, v[78:81]
	s_wait_dscnt 0x0
	s_barrier_signal -1
	s_barrier_wait -1
	ds_load_b128 v[8:11], v51
	ds_load_b128 v[4:7], v51 offset:16
	ds_load_b128 v[72:75], v51 offset:32
	ds_load_b128 v[76:79], v51 offset:48
	s_wait_dscnt 0x3
	v_dual_lshrrev_b32 v71, 16, v8 :: v_dual_lshrrev_b32 v80, 16, v9
	v_lshrrev_b32_e32 v83, 16, v10
	v_and_b32_e32 v81, 0xffff, v8
	v_and_b32_e32 v82, 0xffff, v9
	v_lshrrev_b32_e32 v84, 16, v11
	v_and_b32_e32 v85, 0xffff, v10
	v_and_b32_e32 v86, 0xffff, v11
	s_wait_dscnt 0x2
	v_dual_lshrrev_b32 v87, 16, v4 :: v_dual_lshrrev_b32 v88, 16, v5
	v_and_b32_e32 v89, 0xffff, v4
	v_and_b32_e32 v90, 0xffff, v5
	v_dual_lshrrev_b32 v91, 16, v6 :: v_dual_lshrrev_b32 v92, 16, v7
	v_and_b32_e32 v93, 0xffff, v6
	v_and_b32_e32 v94, 0xffff, v7
	ds_load_b128 v[4:7], v51 offset:64
	ds_load_b128 v[8:11], v51 offset:80
	s_wait_dscnt 0x3
	v_dual_lshrrev_b32 v95, 16, v72 :: v_dual_lshrrev_b32 v96, 16, v73
	v_and_b32_e32 v72, 0xffff, v72
	v_and_b32_e32 v73, 0xffff, v73
	v_dual_lshrrev_b32 v97, 16, v74 :: v_dual_lshrrev_b32 v98, 16, v75
	v_and_b32_e32 v74, 0xffff, v74
	v_and_b32_e32 v75, 0xffff, v75
	s_wait_dscnt 0x2
	v_dual_lshrrev_b32 v99, 16, v76 :: v_dual_lshrrev_b32 v100, 16, v77
	v_and_b32_e32 v76, 0xffff, v76
	v_and_b32_e32 v77, 0xffff, v77
	v_dual_lshrrev_b32 v101, 16, v78 :: v_dual_lshrrev_b32 v102, 16, v79
	v_and_b32_e32 v78, 0xffff, v78
	v_and_b32_e32 v79, 0xffff, v79
	s_wait_dscnt 0x1
	v_dual_lshrrev_b32 v103, 16, v4 :: v_dual_lshrrev_b32 v104, 16, v5
	s_wait_dscnt 0x0
	v_dual_lshrrev_b32 v111, 16, v8 :: v_dual_lshrrev_b32 v112, 16, v9
	v_and_b32_e32 v113, 0xffff, v8
	v_sub_f32_e32 v8, v70, v3
	v_and_b32_e32 v114, 0xffff, v9
	v_dual_lshrrev_b32 v115, 16, v10 :: v_dual_lshrrev_b32 v116, 16, v11
	v_and_b32_e32 v117, 0xffff, v10
	s_delay_alu instid0(VALU_DEP_4)
	v_mul_f32_e32 v9, 0x3fb8aa3b, v8
	v_and_b32_e32 v118, 0xffff, v11
	v_and_b32_e32 v105, 0xffff, v4
	;; [unrolled: 1-line block ×3, first 2 shown]
	v_pk_add_f32 v[4:5], v[30:31], v[36:37]
	v_fma_f32 v10, 0x3fb8aa3b, v8, -v9
	v_rndne_f32_e32 v11, v9
	v_dual_lshrrev_b32 v107, 16, v6 :: v_dual_lshrrev_b32 v108, 16, v7
	v_and_b32_e32 v109, 0xffff, v6
	s_delay_alu instid0(VALU_DEP_3)
	v_dual_fmac_f32 v10, 0x32a5705f, v8 :: v_dual_sub_f32 v9, v9, v11
	v_cvt_i32_f32_e32 v11, v11
	v_and_b32_e32 v110, 0xffff, v7
	v_pk_add_f32 v[6:7], v[32:33], v[34:35]
	v_mul_u32_u24_e32 v33, 0x10001, v71
	v_add_f32_e32 v9, v9, v10
	v_sub_f32_e32 v10, v69, v2
	v_cmp_ngt_f32_e32 vcc_lo, 0xc2ce8ed0, v8
	v_mul_u32_u24_e32 v35, 0x10001, v82
	v_mul_u32_u24_e32 v37, 0x10001, v80
	v_exp_f32_e32 v9, v9
	v_cmp_ngt_f32_e64 s2, 0xc2ce8ed0, v10
	s_delay_alu instid0(TRANS32_DEP_1) | instskip(NEXT) | instid1(VALU_DEP_1)
	v_ldexp_f32 v9, v9, v11
	v_dual_mul_f32 v30, 0x3fb8aa3b, v10 :: v_dual_cndmask_b32 v9, 0, v9
	s_delay_alu instid0(VALU_DEP_1) | instskip(SKIP_2) | instid1(VALU_DEP_2)
	v_fma_f32 v31, 0x3fb8aa3b, v10, -v30
	v_rndne_f32_e32 v32, v30
	v_cmp_nlt_f32_e32 vcc_lo, 0x42b17218, v8
	v_dual_fmac_f32 v31, 0x32a5705f, v10 :: v_dual_sub_f32 v30, v30, v32
	v_cndmask_b32_e32 v9, 0x7f800000, v9, vcc_lo
	v_cvt_i32_f32_e32 v11, v32
	s_delay_alu instid0(VALU_DEP_3) | instskip(NEXT) | instid1(VALU_DEP_1)
	v_add_f32_e32 v30, v30, v31
	v_exp_f32_e32 v30, v30
	v_nop
	s_delay_alu instid0(TRANS32_DEP_1) | instskip(NEXT) | instid1(VALU_DEP_1)
	v_ldexp_f32 v11, v30, v11
	v_cndmask_b32_e64 v8, 0, v11, s2
	v_cmp_nlt_f32_e64 s2, 0x42b17218, v10
	s_delay_alu instid0(VALU_DEP_1) | instskip(NEXT) | instid1(VALU_DEP_1)
	v_cndmask_b32_e64 v8, 0x7f800000, v8, s2
	v_pk_fma_f32 v[14:15], v[14:15], v[8:9], v[6:7]
	v_sub_f32_e32 v6, v68, v1
	v_cvt_f16_f32_e32 v8, v8
	s_delay_alu instid0(VALU_DEP_2) | instskip(SKIP_1) | instid1(VALU_DEP_3)
	v_mul_f32_e32 v7, 0x3fb8aa3b, v6
	v_cmp_ngt_f32_e32 vcc_lo, 0xc2ce8ed0, v6
	v_and_b32_e32 v8, 0xffff, v8
	s_delay_alu instid0(VALU_DEP_3) | instskip(SKIP_1) | instid1(VALU_DEP_3)
	v_fma_f32 v10, 0x3fb8aa3b, v6, -v7
	v_rndne_f32_e32 v11, v7
	v_mul_u32_u24_e32 v8, 0x10001, v8
	s_delay_alu instid0(VALU_DEP_2) | instskip(SKIP_1) | instid1(VALU_DEP_2)
	v_dual_fmac_f32 v10, 0x32a5705f, v6 :: v_dual_sub_f32 v7, v7, v11
	v_cvt_i32_f32_e32 v11, v11
	v_add_f32_e32 v7, v7, v10
	v_sub_f32_e32 v10, v67, v0
	s_delay_alu instid0(VALU_DEP_1) | instskip(NEXT) | instid1(VALU_DEP_3)
	v_mul_f32_e32 v30, 0x3fb8aa3b, v10
	v_exp_f32_e32 v7, v7
	v_cmp_ngt_f32_e64 s2, 0xc2ce8ed0, v10
	s_delay_alu instid0(VALU_DEP_2) | instskip(SKIP_1) | instid1(TRANS32_DEP_1)
	v_fma_f32 v31, 0x3fb8aa3b, v10, -v30
	v_rndne_f32_e32 v32, v30
	v_ldexp_f32 v7, v7, v11
	s_delay_alu instid0(VALU_DEP_2) | instskip(SKIP_1) | instid1(VALU_DEP_3)
	v_dual_fmac_f32 v31, 0x32a5705f, v10 :: v_dual_sub_f32 v30, v30, v32
	v_cvt_i32_f32_e32 v11, v32
	v_cndmask_b32_e32 v7, 0, v7, vcc_lo
	v_cmp_nlt_f32_e32 vcc_lo, 0x42b17218, v6
	s_delay_alu instid0(VALU_DEP_4) | instskip(SKIP_1) | instid1(VALU_DEP_4)
	v_add_f32_e32 v30, v30, v31
	v_mul_u32_u24_e32 v31, 0x10001, v81
	v_cndmask_b32_e32 v7, 0x7f800000, v7, vcc_lo
	s_delay_alu instid0(VALU_DEP_3) | instskip(SKIP_1) | instid1(TRANS32_DEP_1)
	v_exp_f32_e32 v30, v30
	v_nop
	v_ldexp_f32 v11, v30, v11
	s_delay_alu instid0(VALU_DEP_1) | instskip(SKIP_2) | instid1(VALU_DEP_2)
	v_cndmask_b32_e64 v6, 0, v11, s2
	v_cmp_nlt_f32_e64 s2, 0x42b17218, v10
	v_cvt_f16_f32_e32 v10, v7
	v_cndmask_b32_e64 v6, 0x7f800000, v6, s2
	s_delay_alu instid0(VALU_DEP_2) | instskip(SKIP_1) | instid1(SALU_CYCLE_1)
	v_and_b32_e32 v10, 0xffff, v10
	s_or_b32 s2, s10, 32
	s_ashr_i32 s3, s2, 31
	s_delay_alu instid0(VALU_DEP_2) | instskip(SKIP_4) | instid1(VALU_DEP_3)
	v_pk_fma_f32 v[16:17], v[16:17], v[6:7], v[4:5]
	v_cvt_f16_f32_e32 v5, v9
	v_cvt_f16_f32_e32 v4, v6
	v_mul_u32_u24_e32 v10, 0x10001, v10
	s_mul_u64 s[2:3], s[2:3], s[14:15]
	v_and_b32_e32 v5, 0xffff, v5
	s_delay_alu instid0(VALU_DEP_3) | instskip(SKIP_1) | instid1(SALU_CYCLE_1)
	v_and_b32_e32 v4, 0xffff, v4
	s_lshl_b64 s[2:3], s[2:3], 2
	s_add_nc_u64 s[2:3], s[26:27], s[2:3]
	s_delay_alu instid0(VALU_DEP_2) | instskip(NEXT) | instid1(VALU_DEP_2)
	v_mul_u32_u24_e32 v5, 0x10001, v5
	v_mul_u32_u24_e32 v30, 0x10001, v4
	s_delay_alu instid0(VALU_DEP_2)
	v_pk_mul_f16 v9, v59, v5
	v_pk_mul_f16 v11, v60, v5
	ds_load_2addr_b64 v[4:7], v55 offset1:32
	v_mul_u32_u24_e32 v60, 0x10001, v92
	s_wait_dscnt 0x0
	v_pk_mul_f16 v32, v4, v31
	v_pk_mul_f16 v34, v4, v33
	v_pk_mul_f16 v36, v4, v35
	v_pk_fma_f16 v4, v4, v37, v9
	v_pk_fma_f16 v9, v5, v37, v11
	;; [unrolled: 1-line block ×3, first 2 shown]
	v_pk_mul_f16 v30, v66, v30
	v_pk_fma_f16 v34, v63, v10, v34
	v_pk_mul_f16 v10, v64, v10
	v_pk_fma_f16 v36, v61, v8, v36
	;; [unrolled: 2-line block ×3, first 2 shown]
	v_mul_u32_u24_e32 v61, 0x10001, v93
	v_pk_fma_f16 v10, v5, v33, v10
	v_mul_u32_u24_e32 v62, 0x10001, v91
	v_pk_fma_f16 v5, v5, v35, v8
	v_mul_u32_u24_e32 v8, 0x10001, v84
	v_mul_u32_u24_e32 v35, 0x10001, v89
	s_delay_alu instid0(VALU_DEP_2) | instskip(SKIP_2) | instid1(VALU_DEP_2)
	v_pk_fma_f16 v30, v6, v8, v4
	v_mul_u32_u24_e32 v4, 0x10001, v85
	v_pk_fma_f16 v8, v7, v8, v9
	v_pk_fma_f16 v9, v7, v4, v11
	;; [unrolled: 1-line block ×3, first 2 shown]
	v_mul_u32_u24_e32 v4, 0x10001, v83
	s_delay_alu instid0(VALU_DEP_1) | instskip(SKIP_3) | instid1(VALU_DEP_2)
	v_pk_fma_f16 v10, v7, v4, v10
	v_pk_fma_f16 v31, v6, v4, v34
	v_mul_u32_u24_e32 v4, 0x10001, v86
	v_mul_u32_u24_e32 v34, 0x10001, v88
	v_pk_fma_f16 v32, v7, v4, v5
	v_pk_fma_f16 v33, v6, v4, v36
	ds_load_2addr_b64 v[4:7], v55 offset0:64 offset1:96
	v_mul_u32_u24_e32 v36, 0x10001, v87
	s_wait_dscnt 0x0
	v_pk_fma_f16 v30, v4, v34, v30
	v_pk_fma_f16 v37, v5, v35, v9
	s_delay_alu instid0(VALU_DEP_3)
	v_pk_fma_f16 v59, v5, v36, v10
	v_pk_fma_f16 v34, v5, v34, v8
	;; [unrolled: 1-line block ×4, first 2 shown]
	v_mul_u32_u24_e32 v36, 0x10001, v90
	ds_load_b128 v[8:11], v51 offset:96
	v_pk_fma_f16 v34, v7, v60, v34
	v_pk_fma_f16 v37, v7, v61, v37
	;; [unrolled: 1-line block ×7, first 2 shown]
	ds_load_b128 v[30:33], v51 offset:112
	v_mul_u32_u24_e32 v61, 0x10001, v94
	v_pk_fma_f16 v59, v7, v62, v59
	s_delay_alu instid0(VALU_DEP_2)
	v_pk_fma_f16 v62, v7, v61, v5
	v_pk_fma_f16 v61, v6, v61, v4
	ds_load_2addr_b64 v[4:7], v55 offset0:128 offset1:160
	s_wait_dscnt 0x2
	v_lshrrev_b32_e32 v63, 16, v8
	v_and_b32_e32 v65, 0xffff, v8
	v_dual_lshrrev_b32 v67, 16, v10 :: v_dual_lshrrev_b32 v68, 16, v11
	v_and_b32_e32 v69, 0xffff, v10
	v_mul_u32_u24_e32 v8, 0x10001, v96
	v_mul_u32_u24_e32 v10, 0x10001, v72
	s_wait_dscnt 0x1
	v_dual_lshrrev_b32 v64, 16, v9 :: v_dual_lshrrev_b32 v71, 16, v30
	v_dual_lshrrev_b32 v80, 16, v31 :: v_dual_lshrrev_b32 v83, 16, v32
	v_and_b32_e32 v81, 0xffff, v30
	v_and_b32_e32 v85, 0xffff, v32
	v_mul_u32_u24_e32 v30, 0x10001, v95
	v_mul_u32_u24_e32 v32, 0x10001, v73
	v_and_b32_e32 v66, 0xffff, v9
	v_and_b32_e32 v70, 0xffff, v11
	;; [unrolled: 1-line block ×3, first 2 shown]
	s_wait_dscnt 0x0
	v_pk_fma_f16 v9, v4, v8, v36
	v_pk_fma_f16 v8, v5, v8, v34
	;; [unrolled: 1-line block ×8, first 2 shown]
	v_mul_u32_u24_e32 v32, 0x10001, v98
	v_lshrrev_b32_e32 v84, 16, v33
	v_and_b32_e32 v86, 0xffff, v33
	v_mul_u32_u24_e32 v34, 0x10001, v100
	v_mul_u32_u24_e32 v35, 0x10001, v76
	v_pk_fma_f16 v9, v6, v32, v9
	v_pk_fma_f16 v8, v7, v32, v8
	v_mul_u32_u24_e32 v32, 0x10001, v74
	v_mul_u32_u24_e32 v36, 0x10001, v99
	;; [unrolled: 1-line block ×5, first 2 shown]
	v_pk_fma_f16 v11, v7, v32, v11
	v_pk_fma_f16 v10, v6, v32, v10
	v_mul_u32_u24_e32 v32, 0x10001, v97
	s_delay_alu instid0(VALU_DEP_1) | instskip(SKIP_2) | instid1(VALU_DEP_1)
	v_pk_fma_f16 v31, v7, v32, v31
	v_pk_fma_f16 v30, v6, v32, v30
	v_mul_u32_u24_e32 v32, 0x10001, v75
	v_pk_fma_f16 v33, v7, v32, v5
	v_pk_fma_f16 v32, v6, v32, v4
	ds_load_2addr_b64 v[4:7], v55 offset0:192 offset1:224
	s_wait_dscnt 0x0
	v_pk_fma_f16 v37, v4, v34, v9
	v_pk_fma_f16 v59, v5, v35, v11
	;; [unrolled: 1-line block ×6, first 2 shown]
	v_mul_u32_u24_e32 v36, 0x10001, v77
	ds_load_b128 v[8:11], v51 offset:128
	v_pk_fma_f16 v34, v7, v60, v34
	v_pk_fma_f16 v35, v6, v61, v35
	;; [unrolled: 1-line block ×8, first 2 shown]
	ds_load_b128 v[30:33], v51 offset:144
	v_mul_u32_u24_e32 v61, 0x10001, v79
	s_delay_alu instid0(VALU_DEP_1)
	v_pk_fma_f16 v62, v7, v61, v5
	v_pk_fma_f16 v61, v6, v61, v4
	ds_load_2addr_b64 v[4:7], v56 offset1:32
	s_wait_dscnt 0x2
	v_dual_lshrrev_b32 v72, 16, v8 :: v_dual_lshrrev_b32 v73, 16, v9
	v_and_b32_e32 v74, 0xffff, v8
	v_dual_lshrrev_b32 v76, 16, v10 :: v_dual_lshrrev_b32 v77, 16, v11
	v_and_b32_e32 v78, 0xffff, v10
	v_mul_u32_u24_e32 v8, 0x10001, v104
	v_mul_u32_u24_e32 v10, 0x10001, v105
	v_and_b32_e32 v75, 0xffff, v9
	v_and_b32_e32 v79, 0xffff, v11
	s_wait_dscnt 0x1
	v_dual_lshrrev_b32 v87, 16, v30 :: v_dual_lshrrev_b32 v88, 16, v31
	v_and_b32_e32 v89, 0xffff, v30
	v_dual_lshrrev_b32 v91, 16, v32 :: v_dual_lshrrev_b32 v92, 16, v33
	v_and_b32_e32 v93, 0xffff, v32
	v_mul_u32_u24_e32 v30, 0x10001, v103
	v_mul_u32_u24_e32 v32, 0x10001, v106
	v_and_b32_e32 v90, 0xffff, v31
	s_wait_dscnt 0x0
	v_pk_fma_f16 v9, v4, v8, v36
	v_pk_fma_f16 v8, v5, v8, v34
	;; [unrolled: 1-line block ×8, first 2 shown]
	v_mul_u32_u24_e32 v32, 0x10001, v108
	v_and_b32_e32 v94, 0xffff, v33
	v_mul_u32_u24_e32 v34, 0x10001, v112
	v_mul_u32_u24_e32 v35, 0x10001, v113
	;; [unrolled: 1-line block ×3, first 2 shown]
	v_pk_fma_f16 v9, v6, v32, v9
	v_pk_fma_f16 v8, v7, v32, v8
	v_mul_u32_u24_e32 v32, 0x10001, v109
	v_mul_u32_u24_e32 v60, 0x10001, v116
	;; [unrolled: 1-line block ×4, first 2 shown]
	s_delay_alu instid0(VALU_DEP_4) | instskip(SKIP_2) | instid1(VALU_DEP_1)
	v_pk_fma_f16 v11, v7, v32, v11
	v_pk_fma_f16 v10, v6, v32, v10
	v_mul_u32_u24_e32 v32, 0x10001, v107
	v_pk_fma_f16 v31, v7, v32, v31
	v_pk_fma_f16 v30, v6, v32, v30
	v_mul_u32_u24_e32 v32, 0x10001, v110
	s_delay_alu instid0(VALU_DEP_1)
	v_pk_fma_f16 v33, v7, v32, v5
	v_pk_fma_f16 v32, v6, v32, v4
	ds_load_2addr_b64 v[4:7], v56 offset0:64 offset1:96
	s_wait_dscnt 0x0
	v_pk_fma_f16 v37, v4, v34, v9
	v_pk_fma_f16 v59, v5, v35, v11
	;; [unrolled: 1-line block ×6, first 2 shown]
	v_mul_u32_u24_e32 v36, 0x10001, v114
	ds_load_b128 v[8:11], v51 offset:160
	v_pk_fma_f16 v34, v7, v60, v34
	v_pk_fma_f16 v35, v6, v61, v35
	;; [unrolled: 1-line block ×8, first 2 shown]
	ds_load_b128 v[30:33], v51 offset:176
	v_mul_u32_u24_e32 v61, 0x10001, v118
	s_delay_alu instid0(VALU_DEP_1)
	v_pk_fma_f16 v62, v7, v61, v5
	v_pk_fma_f16 v61, v6, v61, v4
	ds_load_2addr_b64 v[4:7], v56 offset0:128 offset1:160
	s_wait_dscnt 0x2
	v_dual_lshrrev_b32 v95, 16, v8 :: v_dual_lshrrev_b32 v96, 16, v9
	v_and_b32_e32 v97, 0xffff, v8
	v_dual_lshrrev_b32 v99, 16, v10 :: v_dual_lshrrev_b32 v100, 16, v11
	v_and_b32_e32 v101, 0xffff, v10
	v_mul_u32_u24_e32 v8, 0x10001, v64
	v_mul_u32_u24_e32 v10, 0x10001, v65
	v_and_b32_e32 v98, 0xffff, v9
	v_and_b32_e32 v102, 0xffff, v11
	s_wait_dscnt 0x1
	v_dual_lshrrev_b32 v103, 16, v30 :: v_dual_lshrrev_b32 v104, 16, v31
	v_and_b32_e32 v105, 0xffff, v30
	v_dual_lshrrev_b32 v107, 16, v32 :: v_dual_lshrrev_b32 v108, 16, v33
	v_and_b32_e32 v109, 0xffff, v32
	v_mul_u32_u24_e32 v30, 0x10001, v63
	v_mul_u32_u24_e32 v32, 0x10001, v66
	v_and_b32_e32 v106, 0xffff, v31
	s_wait_dscnt 0x0
	v_pk_fma_f16 v9, v4, v8, v36
	v_pk_fma_f16 v8, v5, v8, v34
	;; [unrolled: 1-line block ×8, first 2 shown]
	v_mul_u32_u24_e32 v32, 0x10001, v68
	v_and_b32_e32 v110, 0xffff, v33
	v_mul_u32_u24_e32 v34, 0x10001, v80
	v_mul_u32_u24_e32 v35, 0x10001, v81
	v_mul_u32_u24_e32 v36, 0x10001, v71
	v_pk_fma_f16 v9, v6, v32, v9
	v_pk_fma_f16 v8, v7, v32, v8
	v_mul_u32_u24_e32 v32, 0x10001, v69
	v_mul_u32_u24_e32 v60, 0x10001, v84
	;; [unrolled: 1-line block ×4, first 2 shown]
	s_delay_alu instid0(VALU_DEP_4) | instskip(SKIP_2) | instid1(VALU_DEP_1)
	v_pk_fma_f16 v11, v7, v32, v11
	v_pk_fma_f16 v10, v6, v32, v10
	v_mul_u32_u24_e32 v32, 0x10001, v67
	v_pk_fma_f16 v31, v7, v32, v31
	v_pk_fma_f16 v30, v6, v32, v30
	v_mul_u32_u24_e32 v32, 0x10001, v70
	s_delay_alu instid0(VALU_DEP_1)
	v_pk_fma_f16 v33, v7, v32, v5
	v_pk_fma_f16 v32, v6, v32, v4
	ds_load_2addr_b64 v[4:7], v56 offset0:192 offset1:224
	s_wait_dscnt 0x0
	v_pk_fma_f16 v37, v4, v34, v9
	v_pk_fma_f16 v59, v5, v35, v11
	;; [unrolled: 1-line block ×6, first 2 shown]
	v_mul_u32_u24_e32 v36, 0x10001, v82
	ds_load_b128 v[8:11], v51 offset:192
	v_pk_fma_f16 v34, v7, v60, v34
	v_pk_fma_f16 v35, v6, v61, v35
	v_pk_fma_f16 v5, v5, v36, v33
	v_pk_fma_f16 v4, v4, v36, v32
	v_pk_fma_f16 v36, v6, v60, v37
	v_pk_fma_f16 v37, v7, v61, v59
	v_pk_fma_f16 v59, v7, v62, v31
	v_pk_fma_f16 v60, v6, v62, v30
	ds_load_b128 v[30:33], v51 offset:208
	v_mul_u32_u24_e32 v61, 0x10001, v86
	s_delay_alu instid0(VALU_DEP_1)
	v_pk_fma_f16 v62, v7, v61, v5
	v_pk_fma_f16 v61, v6, v61, v4
	ds_load_2addr_b64 v[4:7], v57 offset1:32
	s_wait_dscnt 0x2
	v_dual_lshrrev_b32 v63, 16, v8 :: v_dual_lshrrev_b32 v66, 16, v9
	v_and_b32_e32 v67, 0xffff, v8
	v_dual_lshrrev_b32 v71, 16, v10 :: v_dual_lshrrev_b32 v80, 16, v11
	v_and_b32_e32 v81, 0xffff, v10
	v_mul_u32_u24_e32 v8, 0x10001, v73
	v_mul_u32_u24_e32 v10, 0x10001, v74
	v_and_b32_e32 v70, 0xffff, v9
	v_and_b32_e32 v82, 0xffff, v11
	s_wait_dscnt 0x1
	v_dual_lshrrev_b32 v83, 16, v30 :: v_dual_lshrrev_b32 v84, 16, v31
	v_and_b32_e32 v85, 0xffff, v30
	v_dual_lshrrev_b32 v111, 16, v32 :: v_dual_lshrrev_b32 v112, 16, v33
	v_and_b32_e32 v113, 0xffff, v32
	v_mul_u32_u24_e32 v30, 0x10001, v72
	v_mul_u32_u24_e32 v32, 0x10001, v75
	v_and_b32_e32 v86, 0xffff, v31
	s_wait_dscnt 0x0
	v_pk_fma_f16 v9, v4, v8, v36
	v_pk_fma_f16 v8, v5, v8, v34
	;; [unrolled: 1-line block ×8, first 2 shown]
	v_mul_u32_u24_e32 v32, 0x10001, v77
	v_and_b32_e32 v114, 0xffff, v33
	v_mul_u32_u24_e32 v34, 0x10001, v88
	v_mul_u32_u24_e32 v35, 0x10001, v89
	v_mul_u32_u24_e32 v36, 0x10001, v87
	v_pk_fma_f16 v9, v6, v32, v9
	v_pk_fma_f16 v8, v7, v32, v8
	v_mul_u32_u24_e32 v32, 0x10001, v78
	v_mul_u32_u24_e32 v60, 0x10001, v92
	v_mul_u32_u24_e32 v61, 0x10001, v93
	v_mul_u32_u24_e32 v62, 0x10001, v91
	v_mul_u32_u24_e32 v89, 0x10001, v109
	v_pk_fma_f16 v11, v7, v32, v11
	v_pk_fma_f16 v10, v6, v32, v10
	v_mul_u32_u24_e32 v32, 0x10001, v76
	v_mul_u32_u24_e32 v88, 0x10001, v108
	;; [unrolled: 7-line block ×3, first 2 shown]
	v_mul_u32_u24_e32 v82, 0x10001, v82
	v_mul_u32_u24_e32 v83, 0x10001, v83
	;; [unrolled: 1-line block ×3, first 2 shown]
	v_pk_fma_f16 v33, v7, v32, v5
	v_pk_fma_f16 v32, v6, v32, v4
	ds_load_2addr_b64 v[4:7], v57 offset0:64 offset1:96
	s_wait_dscnt 0x0
	v_pk_fma_f16 v37, v4, v34, v9
	v_pk_fma_f16 v59, v5, v35, v11
	v_pk_fma_f16 v31, v5, v36, v31
	v_pk_fma_f16 v35, v4, v35, v10
	v_pk_fma_f16 v30, v4, v36, v30
	v_mul_u32_u24_e32 v36, 0x10001, v90
	v_pk_fma_f16 v34, v5, v34, v8
	ds_load_b128 v[8:11], v51 offset:224
	v_pk_fma_f16 v35, v6, v61, v35
	v_mul_u32_u24_e32 v90, 0x10001, v107
	v_pk_fma_f16 v5, v5, v36, v33
	v_pk_fma_f16 v4, v4, v36, v32
	;; [unrolled: 1-line block ×4, first 2 shown]
	v_mul_u32_u24_e32 v61, 0x10001, v94
	v_pk_fma_f16 v34, v7, v60, v34
	v_pk_fma_f16 v59, v7, v62, v31
	;; [unrolled: 1-line block ×3, first 2 shown]
	ds_load_b128 v[30:33], v51 offset:240
	v_pk_fma_f16 v62, v7, v61, v5
	v_pk_fma_f16 v61, v6, v61, v4
	ds_load_2addr_b64 v[4:7], v57 offset0:128 offset1:160
	v_mul_u32_u24_e32 v94, 0x10001, v114
	s_wait_dscnt 0x2
	v_dual_lshrrev_b32 v72, 16, v8 :: v_dual_lshrrev_b32 v73, 16, v9
	v_and_b32_e32 v74, 0xffff, v8
	v_mul_u32_u24_e32 v8, 0x10001, v96
	v_and_b32_e32 v75, 0xffff, v9
	v_dual_lshrrev_b32 v76, 16, v10 :: v_dual_lshrrev_b32 v77, 16, v11
	v_and_b32_e32 v78, 0xffff, v10
	v_mul_u32_u24_e32 v10, 0x10001, v97
	v_and_b32_e32 v79, 0xffff, v11
	v_mul_u32_u24_e32 v73, 0x10001, v73
	v_mul_u32_u24_e32 v74, 0x10001, v74
	;; [unrolled: 1-line block ×4, first 2 shown]
	s_wait_dscnt 0x0
	v_pk_fma_f16 v9, v4, v8, v36
	v_pk_fma_f16 v8, v5, v8, v34
	v_mul_u32_u24_e32 v34, 0x10001, v95
	v_mul_u32_u24_e32 v36, 0x10001, v98
	v_pk_fma_f16 v11, v5, v10, v37
	v_pk_fma_f16 v10, v4, v10, v35
	v_mul_u32_u24_e32 v37, 0x10001, v100
	v_pk_fma_f16 v35, v5, v34, v59
	v_pk_fma_f16 v34, v4, v34, v60
	;; [unrolled: 1-line block ×4, first 2 shown]
	v_add_nc_u64_e32 v[4:5], s[2:3], v[24:25]
	v_pk_fma_f16 v60, v6, v37, v9
	v_pk_fma_f16 v37, v7, v37, v8
	v_mul_u32_u24_e32 v8, 0x10001, v101
	v_mul_u32_u24_e32 v9, 0x10001, v99
	;; [unrolled: 1-line block ×4, first 2 shown]
	v_add_nc_u64_e32 v[64:65], v[4:5], v[26:27]
	v_mul_u32_u24_e32 v4, 0x10001, v102
	v_pk_fma_f16 v11, v7, v8, v11
	v_pk_fma_f16 v35, v7, v9, v35
	;; [unrolled: 1-line block ×6, first 2 shown]
	ds_load_2addr_b64 v[4:7], v57 offset0:192 offset1:224
	v_add_nc_u64_e32 v[8:9], s[2:3], v[28:29]
	v_mul_u32_u24_e32 v78, 0x10001, v78
	v_mul_u32_u24_e32 v76, 0x10001, v76
	;; [unrolled: 1-line block ×3, first 2 shown]
	s_delay_alu instid0(VALU_DEP_4) | instskip(SKIP_3) | instid1(VALU_DEP_2)
	v_add_nc_u64_e32 v[68:69], v[8:9], v[26:27]
	v_mul_u32_u24_e32 v8, 0x10001, v104
	v_mul_u32_u24_e32 v9, 0x10001, v105
	s_wait_dscnt 0x0
	v_pk_fma_f16 v60, v4, v8, v60
	s_delay_alu instid0(VALU_DEP_2)
	v_pk_fma_f16 v62, v5, v9, v11
	v_pk_fma_f16 v37, v5, v8, v37
	;; [unrolled: 1-line block ×3, first 2 shown]
	ds_load_2addr_b64 v[8:11], v58 offset1:32
	v_pk_fma_f16 v35, v5, v61, v35
	v_pk_fma_f16 v34, v4, v61, v34
	v_mul_u32_u24_e32 v61, 0x10001, v106
	v_pk_fma_f16 v87, v6, v89, v87
	s_delay_alu instid0(VALU_DEP_2)
	v_pk_fma_f16 v5, v5, v61, v59
	v_pk_fma_f16 v4, v4, v61, v36
	;; [unrolled: 1-line block ×3, first 2 shown]
	v_mul_u32_u24_e32 v89, 0x10001, v110
	v_pk_fma_f16 v59, v6, v88, v60
	v_pk_fma_f16 v60, v7, v88, v37
	;; [unrolled: 1-line block ×6, first 2 shown]
	ds_load_2addr_b64 v[34:37], v58 offset0:64 offset1:96
	ds_load_2addr_b64 v[4:7], v58 offset0:128 offset1:160
	s_wait_dscnt 0x2
	v_pk_fma_f16 v91, v9, v67, v61
	v_pk_fma_f16 v87, v8, v67, v87
	v_mul_u32_u24_e32 v67, 0x10001, v70
	v_pk_fma_f16 v59, v8, v66, v59
	v_pk_fma_f16 v66, v9, v66, v60
	v_mul_u32_u24_e32 v70, 0x10001, v80
	v_pk_fma_f16 v92, v9, v63, v62
	v_pk_fma_f16 v88, v8, v63, v88
	;; [unrolled: 1-line block ×4, first 2 shown]
	v_mul_u32_u24_e32 v80, 0x10001, v81
	ds_load_2addr_b64 v[60:63], v58 offset0:192 offset1:224
	s_wait_dscnt 0x0
	s_barrier_signal -1
	s_barrier_wait -1
	v_pk_fma_f16 v59, v10, v70, v59
	v_pk_fma_f16 v70, v11, v70, v66
	global_load_b128 v[64:67], v[64:65], off
	v_pk_fma_f16 v81, v11, v80, v91
	v_pk_fma_f16 v80, v10, v80, v87
	;; [unrolled: 1-line block ×6, first 2 shown]
	global_load_b128 v[8:11], v[68:69], off
	s_wait_xcnt 0x0
	v_mul_u32_u24_e32 v68, 0x10001, v84
	v_mul_u32_u24_e32 v69, 0x10001, v85
	;; [unrolled: 1-line block ×5, first 2 shown]
	v_pk_fma_f16 v59, v34, v68, v59
	v_pk_fma_f16 v81, v35, v69, v81
	;; [unrolled: 1-line block ×16, first 2 shown]
	v_dual_lshrrev_b32 v87, 16, v30 :: v_dual_lshrrev_b32 v88, 16, v31
	v_and_b32_e32 v30, 0xffff, v30
	v_and_b32_e32 v31, 0xffff, v31
	v_pk_fma_f16 v36, v4, v73, v59
	v_pk_fma_f16 v59, v5, v73, v68
	;; [unrolled: 1-line block ×8, first 2 shown]
	v_dual_lshrrev_b32 v91, 16, v32 :: v_dual_lshrrev_b32 v92, 16, v33
	v_and_b32_e32 v32, 0xffff, v32
	v_and_b32_e32 v33, 0xffff, v33
	v_mul_u32_u24_e32 v88, 0x10001, v88
	v_mul_u32_u24_e32 v30, 0x10001, v30
	v_mul_u32_u24_e32 v87, 0x10001, v87
	v_mul_u32_u24_e32 v31, 0x10001, v31
	v_pk_fma_f16 v34, v6, v77, v36
	v_pk_fma_f16 v36, v7, v77, v59
	;; [unrolled: 1-line block ×8, first 2 shown]
	v_mul_u32_u24_e32 v92, 0x10001, v92
	v_mul_u32_u24_e32 v32, 0x10001, v32
	;; [unrolled: 1-line block ×4, first 2 shown]
	v_pk_fma_f16 v6, v60, v88, v34
	v_pk_fma_f16 v34, v61, v88, v36
	;; [unrolled: 1-line block ×16, first 2 shown]
	s_wait_loadcnt 0x1
	ds_store_b128 v52, v[64:67]
	s_wait_loadcnt 0x0
	ds_store_b128 v53, v[8:11]
	s_wait_dscnt 0x0
	s_barrier_signal -1
	s_barrier_wait -1
	ds_load_b128 v[8:11], v51 offset:256
	ds_load_b128 v[4:7], v51 offset:272
	ds_load_b128 v[30:33], v51 offset:288
	ds_load_b128 v[34:37], v51 offset:304
	ds_load_b128 v[60:63], v51 offset:320
	ds_load_b128 v[64:67], v51 offset:336
	s_wait_dscnt 0x5
	v_dual_lshrrev_b32 v75, 16, v8 :: v_dual_lshrrev_b32 v76, 16, v9
	v_and_b32_e32 v8, 0xffff, v8
	v_and_b32_e32 v77, 0xffff, v9
	s_wait_dscnt 0x4
	v_dual_lshrrev_b32 v83, 16, v6 :: v_dual_lshrrev_b32 v84, 16, v7
	v_and_b32_e32 v85, 0xffff, v6
	v_and_b32_e32 v86, 0xffff, v7
	s_wait_dscnt 0x3
	v_dual_lshrrev_b32 v87, 16, v30 :: v_dual_lshrrev_b32 v88, 16, v31
	v_and_b32_e32 v89, 0xffff, v30
	v_mul_u32_u24_e32 v30, 0x10001, v8
	ds_load_2addr_b64 v[6:9], v55 offset1:32
	v_dual_lshrrev_b32 v78, 16, v10 :: v_dual_lshrrev_b32 v79, 16, v11
	v_and_b32_e32 v10, 0xffff, v10
	v_and_b32_e32 v11, 0xffff, v11
	;; [unrolled: 1-line block ×3, first 2 shown]
	v_dual_lshrrev_b32 v91, 16, v32 :: v_dual_lshrrev_b32 v92, 16, v33
	v_and_b32_e32 v93, 0xffff, v32
	s_wait_dscnt 0x3
	v_dual_lshrrev_b32 v95, 16, v34 :: v_dual_lshrrev_b32 v96, 16, v35
	v_and_b32_e32 v97, 0xffff, v34
	v_mul_u32_u24_e32 v32, 0x10001, v75
	v_mul_u32_u24_e32 v34, 0x10001, v77
	;; [unrolled: 1-line block ×3, first 2 shown]
	v_and_b32_e32 v94, 0xffff, v33
	v_and_b32_e32 v98, 0xffff, v35
	v_dual_lshrrev_b32 v99, 16, v36 :: v_dual_lshrrev_b32 v100, 16, v37
	v_and_b32_e32 v101, 0xffff, v36
	s_wait_dscnt 0x0
	v_pk_fma_f16 v31, v6, v30, v72
	v_pk_fma_f16 v30, v7, v30, v69
	;; [unrolled: 1-line block ×6, first 2 shown]
	v_mul_u32_u24_e32 v36, 0x10001, v76
	v_pk_fma_f16 v31, v8, v10, v31
	v_pk_fma_f16 v10, v9, v10, v30
	v_mul_u32_u24_e32 v30, 0x10001, v78
	v_mul_u32_u24_e32 v11, 0x10001, v11
	v_pk_fma_f16 v6, v6, v36, v59
	v_pk_fma_f16 v7, v7, v36, v68
	v_dual_lshrrev_b32 v80, 16, v4 :: v_dual_lshrrev_b32 v81, 16, v5
	v_pk_fma_f16 v33, v8, v30, v33
	v_pk_fma_f16 v30, v9, v30, v32
	;; [unrolled: 1-line block ×4, first 2 shown]
	v_mul_u32_u24_e32 v34, 0x10001, v79
	v_and_b32_e32 v82, 0xffff, v4
	v_and_b32_e32 v5, 0xffff, v5
	v_and_b32_e32 v102, 0xffff, v37
	v_mul_u32_u24_e32 v37, 0x10001, v80
	v_pk_fma_f16 v35, v8, v34, v6
	v_pk_fma_f16 v34, v9, v34, v7
	ds_load_2addr_b64 v[6:9], v55 offset0:64 offset1:96
	v_mul_u32_u24_e32 v36, 0x10001, v82
	v_mul_u32_u24_e32 v5, 0x10001, v5
	;; [unrolled: 1-line block ×5, first 2 shown]
	v_dual_lshrrev_b32 v103, 16, v60 :: v_dual_lshrrev_b32 v104, 16, v61
	v_and_b32_e32 v60, 0xffff, v60
	v_and_b32_e32 v61, 0xffff, v61
	v_dual_lshrrev_b32 v105, 16, v62 :: v_dual_lshrrev_b32 v106, 16, v63
	v_and_b32_e32 v62, 0xffff, v62
	v_and_b32_e32 v63, 0xffff, v63
	;; [unrolled: 3-line block ×3, first 2 shown]
	v_dual_lshrrev_b32 v109, 16, v66 :: v_dual_lshrrev_b32 v4, 16, v67
	s_wait_dscnt 0x0
	v_pk_fma_f16 v59, v6, v36, v31
	v_pk_fma_f16 v10, v7, v36, v10
	;; [unrolled: 1-line block ×6, first 2 shown]
	v_mul_u32_u24_e32 v11, 0x10001, v81
	ds_load_b128 v[30:33], v51 offset:352
	v_pk_fma_f16 v10, v9, v69, v10
	v_pk_fma_f16 v68, v8, v71, v68
	v_and_b32_e32 v66, 0xffff, v66
	v_pk_fma_f16 v6, v6, v11, v35
	v_pk_fma_f16 v7, v7, v11, v34
	;; [unrolled: 1-line block ×6, first 2 shown]
	v_mul_u32_u24_e32 v5, 0x10001, v84
	ds_load_b128 v[34:37], v51 offset:368
	v_and_b32_e32 v67, 0xffff, v67
	v_mul_u32_u24_e32 v4, 0x10001, v4
	v_pk_fma_f16 v71, v8, v5, v6
	v_pk_fma_f16 v72, v9, v5, v7
	ds_load_2addr_b64 v[6:9], v55 offset0:128 offset1:160
	s_wait_dscnt 0x2
	v_dual_lshrrev_b32 v73, 16, v30 :: v_dual_lshrrev_b32 v74, 16, v31
	v_and_b32_e32 v75, 0xffff, v30
	v_mul_u32_u24_e32 v30, 0x10001, v89
	v_dual_lshrrev_b32 v77, 16, v32 :: v_dual_lshrrev_b32 v78, 16, v33
	v_and_b32_e32 v79, 0xffff, v32
	v_mul_u32_u24_e32 v32, 0x10001, v90
	v_and_b32_e32 v76, 0xffff, v31
	v_and_b32_e32 v80, 0xffff, v33
	s_wait_dscnt 0x1
	v_dual_lshrrev_b32 v81, 16, v34 :: v_dual_lshrrev_b32 v82, 16, v35
	v_and_b32_e32 v83, 0xffff, v34
	v_mul_u32_u24_e32 v34, 0x10001, v88
	v_and_b32_e32 v84, 0xffff, v35
	v_dual_lshrrev_b32 v85, 16, v36 :: v_dual_lshrrev_b32 v5, 16, v37
	s_wait_dscnt 0x0
	v_pk_fma_f16 v11, v6, v30, v11
	v_pk_fma_f16 v10, v7, v30, v10
	v_mul_u32_u24_e32 v30, 0x10001, v87
	v_pk_fma_f16 v33, v6, v32, v68
	v_pk_fma_f16 v32, v7, v32, v70
	v_and_b32_e32 v86, 0xffff, v36
	v_and_b32_e32 v110, 0xffff, v37
	v_pk_fma_f16 v31, v6, v30, v59
	v_pk_fma_f16 v30, v7, v30, v69
	v_pk_fma_f16 v6, v6, v34, v71
	v_pk_fma_f16 v7, v7, v34, v72
	v_mul_u32_u24_e32 v34, 0x10001, v93
	v_mul_u32_u24_e32 v36, 0x10001, v97
	;; [unrolled: 1-line block ×5, first 2 shown]
	v_pk_fma_f16 v11, v8, v34, v11
	v_pk_fma_f16 v10, v9, v34, v10
	v_mul_u32_u24_e32 v34, 0x10001, v91
	v_mul_u32_u24_e32 v70, 0x10001, v101
	;; [unrolled: 1-line block ×5, first 2 shown]
	v_pk_fma_f16 v31, v8, v34, v31
	v_pk_fma_f16 v30, v9, v34, v30
	v_mul_u32_u24_e32 v34, 0x10001, v94
	s_delay_alu instid0(VALU_DEP_1) | instskip(SKIP_2) | instid1(VALU_DEP_1)
	v_pk_fma_f16 v33, v8, v34, v33
	v_pk_fma_f16 v32, v9, v34, v32
	v_mul_u32_u24_e32 v34, 0x10001, v92
	v_pk_fma_f16 v35, v8, v34, v6
	v_pk_fma_f16 v34, v9, v34, v7
	ds_load_2addr_b64 v[6:9], v55 offset0:192 offset1:224
	s_wait_dscnt 0x0
	v_pk_fma_f16 v11, v6, v36, v11
	v_pk_fma_f16 v10, v7, v36, v10
	;; [unrolled: 1-line block ×6, first 2 shown]
	ds_load_b128 v[30:33], v51 offset:384
	v_pk_fma_f16 v6, v6, v69, v35
	v_pk_fma_f16 v7, v7, v69, v34
	;; [unrolled: 1-line block ×6, first 2 shown]
	ds_load_b128 v[34:37], v51 offset:400
	v_mul_u32_u24_e32 v10, 0x10001, v100
	v_pk_fma_f16 v68, v8, v72, v68
	v_pk_fma_f16 v59, v9, v72, v59
	s_delay_alu instid0(VALU_DEP_3)
	v_pk_fma_f16 v72, v8, v10, v6
	v_pk_fma_f16 v7, v9, v10, v7
	ds_load_2addr_b64 v[8:11], v56 offset1:32
	s_wait_dscnt 0x2
	v_dual_lshrrev_b32 v88, 16, v30 :: v_dual_lshrrev_b32 v89, 16, v31
	v_and_b32_e32 v90, 0xffff, v30
	v_dual_lshrrev_b32 v92, 16, v32 :: v_dual_lshrrev_b32 v93, 16, v33
	v_and_b32_e32 v94, 0xffff, v32
	v_mul_u32_u24_e32 v30, 0x10001, v60
	s_wait_dscnt 0x1
	v_dual_lshrrev_b32 v96, 16, v34 :: v_dual_lshrrev_b32 v97, 16, v35
	v_and_b32_e32 v98, 0xffff, v34
	v_dual_lshrrev_b32 v100, 16, v36 :: v_dual_lshrrev_b32 v6, 16, v37
	v_and_b32_e32 v101, 0xffff, v36
	v_mul_u32_u24_e32 v32, 0x10001, v103
	v_mul_u32_u24_e32 v34, 0x10001, v61
	;; [unrolled: 1-line block ×3, first 2 shown]
	v_and_b32_e32 v91, 0xffff, v31
	v_and_b32_e32 v95, 0xffff, v33
	;; [unrolled: 1-line block ×3, first 2 shown]
	s_wait_dscnt 0x0
	v_pk_fma_f16 v31, v8, v30, v69
	v_pk_fma_f16 v30, v9, v30, v70
	;; [unrolled: 1-line block ×7, first 2 shown]
	v_mul_u32_u24_e32 v9, 0x10001, v62
	v_pk_fma_f16 v8, v8, v36, v72
	v_and_b32_e32 v102, 0xffff, v37
	v_mul_u32_u24_e32 v37, 0x10001, v64
	v_mul_u32_u24_e32 v59, 0x10001, v107
	v_pk_fma_f16 v31, v10, v9, v31
	v_pk_fma_f16 v30, v11, v9, v30
	v_mul_u32_u24_e32 v9, 0x10001, v105
	v_mul_u32_u24_e32 v60, 0x10001, v65
	v_mul_u32_u24_e32 v64, 0x10001, v109
	v_mul_u32_u24_e32 v65, 0x10001, v67
	s_delay_alu instid0(VALU_DEP_4) | instskip(SKIP_3) | instid1(VALU_DEP_2)
	v_pk_fma_f16 v33, v10, v9, v33
	v_pk_fma_f16 v32, v11, v9, v32
	v_mul_u32_u24_e32 v9, 0x10001, v63
	v_mul_u32_u24_e32 v63, 0x10001, v66
	v_pk_fma_f16 v35, v10, v9, v35
	v_pk_fma_f16 v34, v11, v9, v34
	v_mul_u32_u24_e32 v9, 0x10001, v106
	s_delay_alu instid0(VALU_DEP_1)
	v_pk_fma_f16 v36, v10, v9, v8
	v_pk_fma_f16 v7, v11, v9, v7
	ds_load_2addr_b64 v[8:11], v56 offset0:64 offset1:96
	s_wait_dscnt 0x0
	v_pk_fma_f16 v61, v8, v37, v31
	v_pk_fma_f16 v37, v9, v37, v30
	;; [unrolled: 1-line block ×6, first 2 shown]
	v_mul_u32_u24_e32 v60, 0x10001, v108
	ds_load_b128 v[30:33], v51 offset:416
	v_pk_fma_f16 v62, v10, v64, v62
	v_pk_fma_f16 v59, v11, v64, v59
	;; [unrolled: 1-line block ×8, first 2 shown]
	ds_load_b128 v[34:37], v51 offset:432
	v_pk_fma_f16 v65, v10, v4, v8
	v_pk_fma_f16 v4, v11, v4, v7
	ds_load_2addr_b64 v[8:11], v56 offset0:128 offset1:160
	s_wait_dscnt 0x2
	v_dual_lshrrev_b32 v66, 16, v30 :: v_dual_lshrrev_b32 v67, 16, v31
	v_and_b32_e32 v7, 0xffff, v30
	v_dual_lshrrev_b32 v69, 16, v32 :: v_dual_lshrrev_b32 v70, 16, v33
	v_and_b32_e32 v71, 0xffff, v32
	v_mul_u32_u24_e32 v30, 0x10001, v75
	v_mul_u32_u24_e32 v32, 0x10001, v73
	v_and_b32_e32 v68, 0xffff, v31
	s_wait_dscnt 0x1
	v_dual_lshrrev_b32 v87, 16, v34 :: v_dual_lshrrev_b32 v103, 16, v35
	v_and_b32_e32 v104, 0xffff, v34
	v_dual_lshrrev_b32 v106, 16, v36 :: v_dual_lshrrev_b32 v107, 16, v37
	v_and_b32_e32 v108, 0xffff, v36
	v_mul_u32_u24_e32 v34, 0x10001, v76
	v_mul_u32_u24_e32 v36, 0x10001, v74
	v_and_b32_e32 v72, 0xffff, v33
	v_and_b32_e32 v105, 0xffff, v35
	s_wait_dscnt 0x0
	v_pk_fma_f16 v31, v8, v30, v60
	v_pk_fma_f16 v30, v9, v30, v61
	;; [unrolled: 1-line block ×7, first 2 shown]
	v_mul_u32_u24_e32 v9, 0x10001, v79
	v_pk_fma_f16 v8, v8, v36, v65
	v_and_b32_e32 v109, 0xffff, v37
	v_mul_u32_u24_e32 v37, 0x10001, v83
	v_mul_u32_u24_e32 v59, 0x10001, v81
	v_pk_fma_f16 v31, v10, v9, v31
	v_pk_fma_f16 v30, v11, v9, v30
	v_mul_u32_u24_e32 v9, 0x10001, v77
	v_mul_u32_u24_e32 v60, 0x10001, v84
	;; [unrolled: 1-line block ×5, first 2 shown]
	v_pk_fma_f16 v33, v10, v9, v33
	v_pk_fma_f16 v32, v11, v9, v32
	v_mul_u32_u24_e32 v9, 0x10001, v80
	s_delay_alu instid0(VALU_DEP_1) | instskip(SKIP_2) | instid1(VALU_DEP_1)
	v_pk_fma_f16 v35, v10, v9, v35
	v_pk_fma_f16 v34, v11, v9, v34
	v_mul_u32_u24_e32 v9, 0x10001, v78
	v_pk_fma_f16 v36, v10, v9, v8
	v_pk_fma_f16 v4, v11, v9, v4
	ds_load_2addr_b64 v[8:11], v56 offset0:192 offset1:224
	s_wait_dscnt 0x0
	v_pk_fma_f16 v61, v8, v37, v31
	v_pk_fma_f16 v37, v9, v37, v30
	;; [unrolled: 1-line block ×6, first 2 shown]
	v_mul_u32_u24_e32 v60, 0x10001, v82
	ds_load_b128 v[30:33], v51 offset:448
	v_pk_fma_f16 v62, v10, v64, v62
	v_pk_fma_f16 v59, v11, v64, v59
	;; [unrolled: 1-line block ×8, first 2 shown]
	ds_load_b128 v[34:37], v51 offset:464
	v_pk_fma_f16 v65, v10, v5, v8
	v_pk_fma_f16 v4, v11, v5, v4
	ds_load_2addr_b64 v[8:11], v57 offset1:32
	v_mul_u32_u24_e32 v5, 0x10001, v90
	s_wait_dscnt 0x2
	v_dual_lshrrev_b32 v73, 16, v30 :: v_dual_lshrrev_b32 v74, 16, v31
	v_and_b32_e32 v76, 0xffff, v31
	v_dual_lshrrev_b32 v77, 16, v32 :: v_dual_lshrrev_b32 v78, 16, v33
	v_and_b32_e32 v80, 0xffff, v33
	v_mul_u32_u24_e32 v31, 0x10001, v88
	v_mul_u32_u24_e32 v33, 0x10001, v91
	v_and_b32_e32 v75, 0xffff, v30
	s_wait_dscnt 0x1
	v_dual_lshrrev_b32 v81, 16, v34 :: v_dual_lshrrev_b32 v82, 16, v35
	v_and_b32_e32 v84, 0xffff, v35
	v_mul_u32_u24_e32 v35, 0x10001, v89
	v_and_b32_e32 v79, 0xffff, v32
	v_and_b32_e32 v83, 0xffff, v34
	s_wait_dscnt 0x0
	v_pk_fma_f16 v30, v8, v5, v60
	v_pk_fma_f16 v5, v9, v5, v61
	;; [unrolled: 1-line block ×7, first 2 shown]
	v_mul_u32_u24_e32 v9, 0x10001, v94
	v_pk_fma_f16 v8, v8, v35, v65
	v_dual_lshrrev_b32 v85, 16, v36 :: v_dual_lshrrev_b32 v86, 16, v37
	v_and_b32_e32 v110, 0xffff, v36
	s_delay_alu instid0(VALU_DEP_4)
	v_pk_fma_f16 v30, v10, v9, v30
	v_pk_fma_f16 v5, v11, v9, v5
	v_mul_u32_u24_e32 v9, 0x10001, v92
	v_and_b32_e32 v111, 0xffff, v37
	v_mul_u32_u24_e32 v36, 0x10001, v98
	v_mul_u32_u24_e32 v37, 0x10001, v96
	;; [unrolled: 1-line block ×3, first 2 shown]
	v_pk_fma_f16 v32, v10, v9, v32
	v_pk_fma_f16 v31, v11, v9, v31
	v_mul_u32_u24_e32 v9, 0x10001, v95
	v_mul_u32_u24_e32 v61, 0x10001, v97
	;; [unrolled: 1-line block ×5, first 2 shown]
	v_pk_fma_f16 v34, v10, v9, v34
	v_pk_fma_f16 v33, v11, v9, v33
	v_mul_u32_u24_e32 v9, 0x10001, v93
	s_delay_alu instid0(VALU_DEP_1)
	v_pk_fma_f16 v35, v10, v9, v8
	v_pk_fma_f16 v4, v11, v9, v4
	ds_load_2addr_b64 v[8:11], v57 offset0:64 offset1:96
	s_wait_dscnt 0x0
	v_pk_fma_f16 v60, v8, v36, v30
	v_pk_fma_f16 v5, v9, v36, v5
	;; [unrolled: 1-line block ×6, first 2 shown]
	ds_load_b128 v[30:33], v51 offset:480
	v_pk_fma_f16 v8, v8, v61, v35
	v_pk_fma_f16 v4, v9, v61, v4
	;; [unrolled: 1-line block ×7, first 2 shown]
	ds_load_b128 v[34:37], v51 offset:496
	v_mul_u32_u24_e32 v5, 0x10001, v6
	v_pk_fma_f16 v59, v11, v64, v59
	s_delay_alu instid0(VALU_DEP_2)
	v_pk_fma_f16 v8, v10, v5, v8
	v_pk_fma_f16 v10, v11, v5, v4
	v_mul_u32_u24_e32 v11, 0x10001, v7
	ds_load_2addr_b64 v[4:7], v57 offset0:128 offset1:160
	s_wait_dscnt 0x2
	v_dual_lshrrev_b32 v64, 16, v30 :: v_dual_lshrrev_b32 v65, 16, v31
	v_and_b32_e32 v88, 0xffff, v30
	v_dual_lshrrev_b32 v90, 16, v32 :: v_dual_lshrrev_b32 v91, 16, v33
	v_and_b32_e32 v92, 0xffff, v32
	v_mul_u32_u24_e32 v30, 0x10001, v66
	v_mul_u32_u24_e32 v32, 0x10001, v68
	s_wait_dscnt 0x1
	v_dual_lshrrev_b32 v94, 16, v34 :: v_dual_lshrrev_b32 v95, 16, v35
	v_and_b32_e32 v96, 0xffff, v34
	v_mul_u32_u24_e32 v34, 0x10001, v67
	v_and_b32_e32 v89, 0xffff, v31
	v_and_b32_e32 v93, 0xffff, v33
	;; [unrolled: 1-line block ×3, first 2 shown]
	v_mul_u32_u24_e32 v35, 0x10001, v87
	v_dual_lshrrev_b32 v98, 16, v36 :: v_dual_lshrrev_b32 v99, 16, v37
	s_wait_dscnt 0x0
	v_pk_fma_f16 v9, v4, v11, v9
	v_pk_fma_f16 v11, v5, v11, v60
	;; [unrolled: 1-line block ×8, first 2 shown]
	v_mul_u32_u24_e32 v8, 0x10001, v71
	v_mul_u32_u24_e32 v10, 0x10001, v69
	;; [unrolled: 1-line block ×3, first 2 shown]
	v_and_b32_e32 v101, 0xffff, v37
	v_and_b32_e32 v100, 0xffff, v36
	v_pk_fma_f16 v9, v6, v8, v9
	v_pk_fma_f16 v8, v7, v8, v11
	;; [unrolled: 1-line block ×4, first 2 shown]
	v_mul_u32_u24_e32 v30, 0x10001, v72
	v_mul_u32_u24_e32 v36, 0x10001, v105
	;; [unrolled: 1-line block ×5, first 2 shown]
	v_pk_fma_f16 v31, v6, v30, v33
	v_pk_fma_f16 v30, v7, v30, v32
	v_mul_u32_u24_e32 v32, 0x10001, v70
	v_mul_u32_u24_e32 v67, 0x10001, v76
	;; [unrolled: 1-line block ×5, first 2 shown]
	v_pk_fma_f16 v33, v6, v32, v4
	v_pk_fma_f16 v32, v7, v32, v5
	ds_load_2addr_b64 v[4:7], v57 offset0:192 offset1:224
	v_mul_u32_u24_e32 v71, 0x10001, v77
	v_mul_u32_u24_e32 v72, 0x10001, v80
	;; [unrolled: 1-line block ×19, first 2 shown]
	s_wait_dscnt 0x0
	v_pk_fma_f16 v37, v4, v34, v9
	v_pk_fma_f16 v34, v5, v34, v8
	;; [unrolled: 1-line block ×4, first 2 shown]
	ds_load_2addr_b64 v[8:11], v58 offset1:32
	v_pk_fma_f16 v31, v4, v36, v31
	v_pk_fma_f16 v30, v5, v36, v30
	v_mul_u32_u24_e32 v36, 0x10001, v103
	v_pk_fma_f16 v34, v7, v60, v34
	v_pk_fma_f16 v35, v7, v61, v35
	v_mul_u32_u24_e32 v91, 0x10001, v95
	v_mul_u32_u24_e32 v92, 0x10001, v100
	v_pk_fma_f16 v4, v4, v36, v33
	v_pk_fma_f16 v5, v5, v36, v32
	v_pk_fma_f16 v36, v6, v60, v37
	v_pk_fma_f16 v37, v6, v61, v59
	v_pk_fma_f16 v59, v6, v62, v31
	v_pk_fma_f16 v60, v7, v62, v30
	ds_load_2addr_b64 v[30:33], v58 offset0:64 offset1:96
	v_mul_u32_u24_e32 v61, 0x10001, v107
	v_mul_u32_u24_e32 v93, 0x10001, v98
	;; [unrolled: 1-line block ×3, first 2 shown]
	s_delay_alu instid0(VALU_DEP_3)
	v_pk_fma_f16 v62, v6, v61, v4
	v_pk_fma_f16 v61, v7, v61, v5
	s_wait_dscnt 0x1
	v_pk_fma_f16 v59, v8, v67, v59
	v_pk_fma_f16 v60, v9, v67, v60
	v_mul_u32_u24_e32 v67, 0x10001, v74
	ds_load_2addr_b64 v[4:7], v58 offset0:128 offset1:160
	v_pk_fma_f16 v68, v8, v63, v36
	v_pk_fma_f16 v63, v9, v63, v34
	;; [unrolled: 1-line block ×6, first 2 shown]
	v_mul_u32_u24_e32 v74, 0x10001, v83
	v_pk_fma_f16 v61, v10, v70, v68
	v_pk_fma_f16 v62, v11, v70, v63
	;; [unrolled: 1-line block ×8, first 2 shown]
	ds_load_2addr_b64 v[34:37], v58 offset0:192 offset1:224
	s_wait_dscnt 0x2
	v_pk_fma_f16 v10, v30, v74, v61
	v_pk_fma_f16 v11, v31, v74, v62
	;; [unrolled: 1-line block ×8, first 2 shown]
	s_wait_dscnt 0x0
	s_barrier_signal -1
	s_barrier_wait -1
	s_load_b32 s2, s[36:37], 0x4
	v_mul_u32_u24_e32 v83, 0x10001, v89
	v_pk_fma_f16 v10, v32, v78, v10
	v_pk_fma_f16 v11, v33, v78, v11
	;; [unrolled: 1-line block ×16, first 2 shown]
	v_mul_u32_u24_e32 v89, 0x10001, v94
	v_pk_fma_f16 v8, v6, v84, v10
	v_pk_fma_f16 v9, v7, v84, v11
	;; [unrolled: 1-line block ×8, first 2 shown]
	v_mul_u32_u24_e32 v94, 0x10001, v101
	v_pk_fma_f16 v6, v34, v88, v8
	v_pk_fma_f16 v7, v34, v89, v10
	;; [unrolled: 1-line block ×8, first 2 shown]
	s_wait_kmcnt 0x0
	s_lshl_b32 s2, s2, 6
	v_pk_fma_f16 v65, v36, v92, v6
	v_pk_fma_f16 v63, v36, v93, v7
	;; [unrolled: 1-line block ×8, first 2 shown]
	s_add_co_i32 s10, s2, s10
	s_delay_alu instid0(SALU_CYCLE_1)
	s_cmp_ge_i32 s10, s30
	s_cbranch_scc0 .LBB9_17
; %bb.18:
	v_dual_mov_b32 v4, 32 :: v_dual_mov_b32 v5, v41
.LBB9_19:
	s_delay_alu instid0(VALU_DEP_1)
	v_cmp_lt_i32_e32 vcc_lo, v46, v4
	s_cmp_lg_u64 s[12:13], 0
	s_cselect_b32 s2, -1, 0
	s_cmp_eq_u32 s31, 0
	v_cndmask_b32_e32 v6, v5, v46, vcc_lo
	v_cmp_lt_i32_e32 vcc_lo, v45, v4
	s_cselect_b32 s3, -1, 0
	s_delay_alu instid0(SALU_CYCLE_1)
	s_and_b32 s2, s3, s2
	v_cndmask_b32_e32 v10, v5, v45, vcc_lo
	v_cmp_lt_i32_e32 vcc_lo, v44, v4
	v_lshlrev_b32_e32 v9, 2, v6
	ds_bpermute_b32 v6, v9, v16
	ds_bpermute_b32 v7, v9, v17
	s_wait_dscnt 0x0
	v_pk_add_f32 v[6:7], v[16:17], v[6:7]
	v_cndmask_b32_e32 v16, v5, v44, vcc_lo
	ds_bpermute_b32 v8, v9, v14
	ds_bpermute_b32 v9, v9, v15
	v_lshlrev_b32_e32 v18, 2, v10
	v_cmp_lt_i32_e32 vcc_lo, v43, v4
	v_lshlrev_b32_e32 v16, 2, v16
	ds_bpermute_b32 v10, v18, v6
	ds_bpermute_b32 v11, v18, v7
	s_wait_dscnt 0x2
	v_pk_add_f32 v[8:9], v[14:15], v[8:9]
	ds_bpermute_b32 v14, v18, v8
	ds_bpermute_b32 v15, v18, v9
	s_wait_dscnt 0x2
	v_pk_add_f32 v[6:7], v[6:7], v[10:11]
	ds_bpermute_b32 v10, v16, v6
	ds_bpermute_b32 v11, v16, v7
	s_wait_dscnt 0x2
	v_pk_add_f32 v[8:9], v[8:9], v[14:15]
	ds_bpermute_b32 v14, v16, v8
	ds_bpermute_b32 v15, v16, v9
	v_cndmask_b32_e32 v16, v5, v43, vcc_lo
	v_cmp_lt_i32_e32 vcc_lo, v42, v4
	s_wait_dscnt 0x2
	v_pk_add_f32 v[6:7], v[6:7], v[10:11]
	s_delay_alu instid0(VALU_DEP_3)
	v_dual_cndmask_b32 v4, v5, v42, vcc_lo :: v_dual_lshlrev_b32 v16, 2, v16
	s_and_b32 vcc_lo, exec_lo, s2
	ds_bpermute_b32 v10, v16, v6
	ds_bpermute_b32 v11, v16, v7
	s_wait_dscnt 0x2
	v_pk_add_f32 v[8:9], v[8:9], v[14:15]
	ds_bpermute_b32 v14, v16, v8
	ds_bpermute_b32 v15, v16, v9
	v_lshlrev_b32_e32 v16, 2, v4
	s_wait_dscnt 0x2
	v_pk_add_f32 v[4:5], v[6:7], v[10:11]
	ds_bpermute_b32 v6, v16, v4
	ds_bpermute_b32 v7, v16, v5
	s_wait_dscnt 0x2
	v_pk_add_f32 v[8:9], v[8:9], v[14:15]
	ds_bpermute_b32 v10, v16, v8
	ds_bpermute_b32 v11, v16, v9
	s_wait_dscnt 0x2
	v_pk_add_f32 v[6:7], v[4:5], v[6:7]
	s_wait_dscnt 0x0
	v_pk_add_f32 v[4:5], v[8:9], v[10:11]
	v_add_nc_u32_e32 v8, s33, v12
	s_cbranch_vccz .LBB9_21
; %bb.20:
	s_delay_alu instid0(VALU_DEP_1) | instskip(NEXT) | instid1(VALU_DEP_1)
	v_dual_ashrrev_i32 v9, 31, v8 :: v_dual_max_num_f32 v21, v3, v3
	v_lshl_add_u64 v[10:11], v[8:9], 2, s[12:13]
	v_max_num_f32_e32 v9, v0, v0
	global_load_b128 v[14:17], v[10:11], off
	s_wait_xcnt 0x0
	v_dual_max_num_f32 v10, v1, v1 :: v_dual_max_num_f32 v11, v2, v2
	s_wait_loadcnt 0x0
	v_dual_max_num_f32 v12, v14, v14 :: v_dual_max_num_f32 v19, v15, v15
	v_dual_max_num_f32 v20, v16, v16 :: v_dual_max_num_f32 v22, v17, v17
	s_delay_alu instid0(VALU_DEP_2) | instskip(NEXT) | instid1(VALU_DEP_2)
	v_dual_max_num_f32 v19, v10, v19 :: v_dual_max_num_f32 v18, v9, v12
	v_dual_max_num_f32 v20, v11, v20 :: v_dual_max_num_f32 v21, v21, v22
	s_delay_alu instid0(VALU_DEP_2) | instskip(SKIP_1) | instid1(VALU_DEP_3)
	v_dual_sub_f32 v10, v15, v19 :: v_dual_sub_f32 v0, v0, v18
	v_dual_sub_f32 v9, v14, v18 :: v_dual_sub_f32 v1, v1, v19
	;; [unrolled: 1-line block ×3, first 2 shown]
	s_delay_alu instid0(VALU_DEP_3) | instskip(NEXT) | instid1(VALU_DEP_3)
	v_dual_sub_f32 v15, v3, v21 :: v_dual_mul_f32 v2, 0x3fb8aa3b, v0
	v_mul_f32_e32 v3, 0x3fb8aa3b, v9
	v_dual_sub_f32 v16, v17, v21 :: v_dual_mul_f32 v17, 0x3fb8aa3b, v10
	s_delay_alu instid0(VALU_DEP_4) | instskip(NEXT) | instid1(VALU_DEP_4)
	v_dual_mul_f32 v14, 0x3fb8aa3b, v1 :: v_dual_mul_f32 v23, 0x3fb8aa3b, v12
	v_fma_f32 v26, 0x3fb8aa3b, v0, -v2
	v_rndne_f32_e32 v27, v2
	s_delay_alu instid0(VALU_DEP_4)
	v_dual_mul_f32 v22, 0x3fb8aa3b, v11 :: v_dual_mul_f32 v25, 0x3fb8aa3b, v16
	v_fma_f32 v28, 0x3fb8aa3b, v9, -v3
	v_rndne_f32_e32 v29, v3
	v_rndne_f32_e32 v33, v17
	;; [unrolled: 1-line block ×3, first 2 shown]
	v_fmac_f32_e32 v26, 0x32a5705f, v0
	v_sub_f32_e32 v2, v2, v27
	v_dual_mul_f32 v24, 0x3fb8aa3b, v15 :: v_dual_sub_f32 v3, v3, v29
	v_fma_f32 v30, 0x3fb8aa3b, v1, -v14
	v_fma_f32 v32, 0x3fb8aa3b, v10, -v17
	;; [unrolled: 1-line block ×3, first 2 shown]
	v_rndne_f32_e32 v43, v25
	v_fmac_f32_e32 v28, 0x32a5705f, v9
	v_sub_f32_e32 v17, v17, v33
	v_dual_sub_f32 v23, v23, v37 :: v_dual_add_f32 v2, v2, v26
	v_fma_f32 v42, 0x3fb8aa3b, v16, -v25
	v_dual_sub_f32 v25, v25, v43 :: v_dual_fmac_f32 v30, 0x32a5705f, v1
	v_add_f32_e32 v3, v3, v28
	s_delay_alu instid0(VALU_DEP_4)
	v_exp_f32_e32 v2, v2
	v_cvt_i32_f32_e32 v27, v27
	v_rndne_f32_e32 v31, v14
	v_cvt_i32_f32_e32 v29, v29
	v_exp_f32_e32 v3, v3
	v_cmp_ngt_f32_e32 vcc_lo, 0xc2ce8ed0, v0
	v_rndne_f32_e32 v41, v24
	v_ldexp_f32 v2, v2, v27
	v_sub_f32_e32 v14, v14, v31
	v_fma_f32 v34, 0x3fb8aa3b, v11, -v22
	v_fma_f32 v40, 0x3fb8aa3b, v15, -v24
	v_ldexp_f32 v3, v3, v29
	v_cndmask_b32_e32 v2, 0, v2, vcc_lo
	v_cmp_ngt_f32_e32 vcc_lo, 0xc2ce8ed0, v9
	v_fmac_f32_e32 v42, 0x32a5705f, v16
	v_dual_sub_f32 v24, v24, v41 :: v_dual_add_f32 v14, v14, v30
	v_cvt_i32_f32_e32 v31, v31
	v_dual_cndmask_b32 v3, 0, v3 :: v_dual_fmac_f32 v36, 0x32a5705f, v12
	s_delay_alu instid0(VALU_DEP_4) | instskip(SKIP_4) | instid1(VALU_DEP_3)
	v_add_f32_e32 v25, v25, v42
	v_fmac_f32_e32 v32, 0x32a5705f, v10
	v_exp_f32_e32 v14, v14
	v_cvt_i32_f32_e32 v33, v33
	v_dual_add_f32 v23, v23, v36 :: v_dual_fmac_f32 v34, 0x32a5705f, v11
	v_add_f32_e32 v17, v17, v32
	v_cmp_ngt_f32_e32 vcc_lo, 0xc2ce8ed0, v1
	v_rndne_f32_e32 v35, v22
	s_delay_alu instid0(TRANS32_DEP_1)
	v_ldexp_f32 v14, v14, v31
	v_exp_f32_e32 v25, v25
	v_exp_f32_e32 v17, v17
	v_cvt_i32_f32_e32 v43, v43
	v_exp_f32_e32 v23, v23
	v_cndmask_b32_e32 v14, 0, v14, vcc_lo
	v_cmp_ngt_f32_e32 vcc_lo, 0xc2ce8ed0, v10
	v_cvt_i32_f32_e32 v37, v37
	v_ldexp_f32 v25, v25, v43
	v_ldexp_f32 v17, v17, v33
	v_fmac_f32_e32 v40, 0x32a5705f, v15
	v_cvt_i32_f32_e32 v41, v41
	v_ldexp_f32 v23, v23, v37
	s_delay_alu instid0(VALU_DEP_4) | instskip(NEXT) | instid1(VALU_DEP_4)
	v_dual_cndmask_b32 v17, 0, v17 :: v_dual_sub_f32 v22, v22, v35
	v_add_f32_e32 v24, v24, v40
	v_cvt_i32_f32_e32 v35, v35
	v_cmp_ngt_f32_e32 vcc_lo, 0xc2ce8ed0, v11
	s_delay_alu instid0(VALU_DEP_4) | instskip(NEXT) | instid1(VALU_DEP_4)
	v_add_f32_e32 v22, v22, v34
	v_exp_f32_e32 v24, v24
	s_delay_alu instid0(VALU_DEP_1) | instskip(NEXT) | instid1(TRANS32_DEP_2)
	v_exp_f32_e32 v22, v22
	v_ldexp_f32 v24, v24, v41
	s_delay_alu instid0(TRANS32_DEP_1) | instskip(NEXT) | instid1(VALU_DEP_1)
	v_ldexp_f32 v22, v22, v35
	v_cndmask_b32_e32 v22, 0, v22, vcc_lo
	v_cmp_ngt_f32_e32 vcc_lo, 0xc2ce8ed0, v12
	v_cndmask_b32_e32 v23, 0, v23, vcc_lo
	v_cmp_ngt_f32_e32 vcc_lo, 0xc2ce8ed0, v15
	;; [unrolled: 2-line block ×3, first 2 shown]
	v_cndmask_b32_e32 v25, 0, v25, vcc_lo
	v_cmp_nlt_f32_e32 vcc_lo, 0x42b17218, v0
	v_cndmask_b32_e32 v0, 0x7f800000, v2, vcc_lo
	v_cmp_nlt_f32_e32 vcc_lo, 0x42b17218, v9
	s_delay_alu instid0(VALU_DEP_2) | instskip(SKIP_2) | instid1(VALU_DEP_3)
	v_cvt_f16_f32_e32 v9, v0
	v_cndmask_b32_e32 v2, 0x7f800000, v3, vcc_lo
	v_cmp_nlt_f32_e32 vcc_lo, 0x42b17218, v1
	v_and_b32_e32 v9, 0xffff, v9
	v_cndmask_b32_e32 v1, 0x7f800000, v14, vcc_lo
	v_cmp_nlt_f32_e32 vcc_lo, 0x42b17218, v10
	v_cndmask_b32_e32 v3, 0x7f800000, v17, vcc_lo
	v_cmp_nlt_f32_e32 vcc_lo, 0x42b17218, v11
	s_delay_alu instid0(VALU_DEP_2)
	v_pk_fma_f32 v[6:7], v[6:7], v[0:1], v[2:3]
	v_cndmask_b32_e32 v10, 0x7f800000, v22, vcc_lo
	v_cmp_nlt_f32_e32 vcc_lo, 0x42b17218, v12
	v_cvt_f16_f32_e32 v12, v1
	v_mul_u32_u24_e32 v3, 0x10001, v9
	v_cndmask_b32_e32 v14, 0x7f800000, v23, vcc_lo
	v_cmp_nlt_f32_e32 vcc_lo, 0x42b17218, v15
	s_delay_alu instid0(VALU_DEP_4) | instskip(NEXT) | instid1(VALU_DEP_4)
	v_and_b32_e32 v0, 0xffff, v12
	v_pk_mul_f16 v65, v65, v3
	v_pk_mul_f16 v66, v66, v3
	v_cndmask_b32_e32 v11, 0x7f800000, v24, vcc_lo
	v_cmp_nlt_f32_e32 vcc_lo, 0x42b17218, v16
	v_cvt_f16_f32_e32 v16, v10
	v_mul_u32_u24_e32 v0, 0x10001, v0
	s_delay_alu instid0(VALU_DEP_4) | instskip(SKIP_1) | instid1(VALU_DEP_4)
	v_cvt_f16_f32_e32 v17, v11
	v_cndmask_b32_e32 v15, 0x7f800000, v25, vcc_lo
	v_and_b32_e32 v1, 0xffff, v16
	s_delay_alu instid0(VALU_DEP_4) | instskip(SKIP_4) | instid1(VALU_DEP_3)
	v_pk_mul_f16 v63, v63, v0
	v_pk_mul_f16 v64, v64, v0
	v_and_b32_e32 v2, 0xffff, v17
	v_pk_fma_f32 v[4:5], v[4:5], v[10:11], v[14:15]
	v_mul_u32_u24_e32 v1, 0x10001, v1
	v_mul_u32_u24_e32 v2, 0x10001, v2
	s_delay_alu instid0(VALU_DEP_2) | instskip(SKIP_1) | instid1(VALU_DEP_3)
	v_pk_mul_f16 v61, v61, v1
	v_pk_mul_f16 v62, v62, v1
	;; [unrolled: 1-line block ×4, first 2 shown]
	v_mov_b64_e32 v[0:1], v[18:19]
	v_mov_b64_e32 v[2:3], v[20:21]
.LBB9_21:
	s_mov_b32 s2, exec_lo
	v_cmpx_gt_i32_e64 s22, v38
	s_cbranch_execz .LBB9_38
; %bb.22:
	s_load_b32 s0, s[0:1], 0xd4
	v_mov_b32_e32 v10, 1.0
	s_wait_kmcnt 0x0
	s_cmp_lg_u32 s0, 1
	s_cselect_b32 s1, -1, 0
	s_cmp_eq_u32 s0, 1
	s_cselect_b32 s2, -1, 0
	s_and_b32 vcc_lo, exec_lo, s1
	s_cbranch_vccnz .LBB9_24
; %bb.23:
	v_div_scale_f32 v9, null, v6, v6, 1.0
	s_delay_alu instid0(VALU_DEP_1) | instskip(SKIP_1) | instid1(TRANS32_DEP_1)
	v_rcp_f32_e32 v10, v9
	v_nop
	v_fma_f32 v11, -v9, v10, 1.0
	s_delay_alu instid0(VALU_DEP_1) | instskip(SKIP_1) | instid1(VALU_DEP_1)
	v_fmac_f32_e32 v10, v11, v10
	v_div_scale_f32 v11, vcc_lo, 1.0, v6, 1.0
	v_mul_f32_e32 v12, v11, v10
	s_delay_alu instid0(VALU_DEP_1) | instskip(NEXT) | instid1(VALU_DEP_1)
	v_fma_f32 v14, -v9, v12, v11
	v_fmac_f32_e32 v12, v14, v10
	s_delay_alu instid0(VALU_DEP_1) | instskip(NEXT) | instid1(VALU_DEP_1)
	v_fma_f32 v9, -v9, v12, v11
	v_div_fmas_f32 v9, v9, v10, v12
	s_delay_alu instid0(VALU_DEP_1)
	v_div_fixup_f32 v10, v9, v6, 1.0
.LBB9_24:
	v_mad_u32 v9, s28, s22, v38
	v_lshrrev_b32_e32 v11, 16, v66
	v_cvt_f32_f16_e32 v16, v65
	v_cvt_f32_f16_e32 v18, v66
	v_cmp_eq_u32_e32 vcc_lo, 0, v13
	v_mov_b32_e32 v15, 0
	v_cvt_f32_f16_e32 v19, v11
	s_and_b32 s1, vcc_lo, s1
	v_mad_u32 v8, v9, s23, v8
	s_delay_alu instid0(VALU_DEP_1) | instskip(SKIP_1) | instid1(VALU_DEP_1)
	v_mad_u32 v9, s0, v8, s31
	v_lshrrev_b32_e32 v8, 16, v65
	v_cvt_f32_f16_e32 v17, v8
	s_delay_alu instid0(VALU_DEP_1) | instskip(NEXT) | instid1(VALU_DEP_4)
	v_pk_mul_f32 v[12:13], v[10:11], v[16:17] op_sel_hi:[0,1]
	v_lshl_add_u32 v14, v9, 7, v39
	s_delay_alu instid0(VALU_DEP_1)
	v_lshl_add_u64 v[16:17], v[14:15], 2, s[16:17]
	v_pk_mul_f32 v[14:15], v[10:11], v[18:19] op_sel_hi:[0,1]
	global_store_b128 v[16:17], v[12:15], off
	s_wait_xcnt 0x0
	s_and_saveexec_b32 s3, s1
	s_cbranch_execz .LBB9_26
; %bb.25:
	v_dual_mov_b32 v10, v0 :: v_dual_mov_b32 v11, v6
	global_store_b64 v9, v[10:11], s[18:19] scale_offset
.LBB9_26:
	s_wait_xcnt 0x0
	s_or_b32 exec_lo, exec_lo, s3
	v_cndmask_b32_e64 v8, 0, 1, s2
	v_mov_b32_e32 v0, 1.0
	s_and_not1_b32 vcc_lo, exec_lo, s2
	s_cbranch_vccnz .LBB9_28
; %bb.27:
	v_div_scale_f32 v0, null, v7, v7, 1.0
	s_delay_alu instid0(VALU_DEP_1) | instskip(SKIP_1) | instid1(TRANS32_DEP_1)
	v_rcp_f32_e32 v6, v0
	v_nop
	v_fma_f32 v10, -v0, v6, 1.0
	s_delay_alu instid0(VALU_DEP_1) | instskip(SKIP_1) | instid1(VALU_DEP_1)
	v_fmac_f32_e32 v6, v10, v6
	v_div_scale_f32 v10, vcc_lo, 1.0, v7, 1.0
	v_mul_f32_e32 v11, v10, v6
	s_delay_alu instid0(VALU_DEP_1) | instskip(NEXT) | instid1(VALU_DEP_1)
	v_fma_f32 v12, -v0, v11, v10
	v_fmac_f32_e32 v11, v12, v6
	s_delay_alu instid0(VALU_DEP_1) | instskip(NEXT) | instid1(VALU_DEP_1)
	v_fma_f32 v0, -v0, v11, v10
	v_div_fmas_f32 v0, v0, v6, v11
	s_delay_alu instid0(VALU_DEP_1)
	v_div_fixup_f32 v0, v0, v7, 1.0
.LBB9_28:
	v_dual_add_nc_u32 v9, s0, v9 :: v_dual_lshrrev_b32 v6, 16, v63
	v_dual_mov_b32 v11, 0 :: v_dual_lshrrev_b32 v15, 16, v64
	v_cvt_f32_f16_e32 v12, v63
	s_delay_alu instid0(VALU_DEP_3) | instskip(NEXT) | instid1(VALU_DEP_4)
	v_lshl_add_u32 v10, v9, 7, v39
	v_cvt_f32_f16_e32 v13, v6
	v_cvt_f32_f16_e32 v14, v64
	;; [unrolled: 1-line block ×3, first 2 shown]
	s_delay_alu instid0(VALU_DEP_4) | instskip(NEXT) | instid1(VALU_DEP_4)
	v_lshl_add_u64 v[16:17], v[10:11], 2, s[16:17]
	v_pk_mul_f32 v[10:11], v[0:1], v[12:13] op_sel_hi:[0,1]
	s_delay_alu instid0(VALU_DEP_3)
	v_pk_mul_f32 v[12:13], v[0:1], v[14:15] op_sel_hi:[0,1]
	global_store_b128 v[16:17], v[10:13], off
	s_wait_xcnt 0x0
	s_and_saveexec_b32 s2, s1
	s_cbranch_execz .LBB9_30
; %bb.29:
	v_mov_b32_e32 v6, v1
	global_store_b64 v9, v[6:7], s[18:19] scale_offset
.LBB9_30:
	s_wait_xcnt 0x0
	s_or_b32 exec_lo, exec_lo, s2
	v_cmp_ne_u32_e32 vcc_lo, 1, v8
	v_mov_b32_e32 v0, 1.0
	s_cbranch_vccnz .LBB9_32
; %bb.31:
	v_div_scale_f32 v0, null, v4, v4, 1.0
	s_delay_alu instid0(VALU_DEP_1) | instskip(SKIP_1) | instid1(TRANS32_DEP_1)
	v_rcp_f32_e32 v1, v0
	v_nop
	v_fma_f32 v6, -v0, v1, 1.0
	s_delay_alu instid0(VALU_DEP_1) | instskip(SKIP_1) | instid1(VALU_DEP_1)
	v_fmac_f32_e32 v1, v6, v1
	v_div_scale_f32 v6, vcc_lo, 1.0, v4, 1.0
	v_mul_f32_e32 v7, v6, v1
	s_delay_alu instid0(VALU_DEP_1) | instskip(NEXT) | instid1(VALU_DEP_1)
	v_fma_f32 v10, -v0, v7, v6
	v_fmac_f32_e32 v7, v10, v1
	s_delay_alu instid0(VALU_DEP_1) | instskip(NEXT) | instid1(VALU_DEP_1)
	v_fma_f32 v0, -v0, v7, v6
	v_div_fmas_f32 v0, v0, v1, v7
	s_delay_alu instid0(VALU_DEP_1)
	v_div_fixup_f32 v0, v0, v4, 1.0
.LBB9_32:
	v_dual_add_nc_u32 v1, s0, v9 :: v_dual_mov_b32 v7, 0
	v_dual_lshrrev_b32 v9, 16, v61 :: v_dual_lshrrev_b32 v13, 16, v62
	v_cvt_f32_f16_e32 v10, v61
	s_delay_alu instid0(VALU_DEP_3) | instskip(SKIP_1) | instid1(VALU_DEP_4)
	v_lshl_add_u32 v6, v1, 7, v39
	v_cvt_f32_f16_e32 v12, v62
	v_cvt_f32_f16_e32 v11, v9
	;; [unrolled: 1-line block ×3, first 2 shown]
	s_delay_alu instid0(VALU_DEP_4) | instskip(NEXT) | instid1(VALU_DEP_3)
	v_lshl_add_u64 v[6:7], v[6:7], 2, s[16:17]
	v_pk_mul_f32 v[10:11], v[0:1], v[10:11] op_sel_hi:[0,1]
	s_delay_alu instid0(VALU_DEP_3)
	v_pk_mul_f32 v[12:13], v[0:1], v[12:13] op_sel_hi:[0,1]
	global_store_b128 v[6:7], v[10:13], off
	s_wait_xcnt 0x0
	s_and_saveexec_b32 s2, s1
	s_cbranch_execz .LBB9_34
; %bb.33:
	v_dual_mov_b32 v6, v2 :: v_dual_mov_b32 v7, v4
	global_store_b64 v1, v[6:7], s[18:19] scale_offset
.LBB9_34:
	s_wait_xcnt 0x0
	s_or_b32 exec_lo, exec_lo, s2
	v_cmp_ne_u32_e32 vcc_lo, 1, v8
	v_mov_b32_e32 v0, 1.0
	s_cbranch_vccnz .LBB9_36
; %bb.35:
	v_div_scale_f32 v0, null, v5, v5, 1.0
	s_delay_alu instid0(VALU_DEP_1) | instskip(SKIP_1) | instid1(TRANS32_DEP_1)
	v_rcp_f32_e32 v2, v0
	v_nop
	v_fma_f32 v4, -v0, v2, 1.0
	s_delay_alu instid0(VALU_DEP_1) | instskip(SKIP_1) | instid1(VALU_DEP_1)
	v_fmac_f32_e32 v2, v4, v2
	v_div_scale_f32 v4, vcc_lo, 1.0, v5, 1.0
	v_mul_f32_e32 v6, v4, v2
	s_delay_alu instid0(VALU_DEP_1) | instskip(NEXT) | instid1(VALU_DEP_1)
	v_fma_f32 v7, -v0, v6, v4
	v_fmac_f32_e32 v6, v7, v2
	s_delay_alu instid0(VALU_DEP_1) | instskip(NEXT) | instid1(VALU_DEP_1)
	v_fma_f32 v0, -v0, v6, v4
	v_div_fmas_f32 v0, v0, v2, v6
	s_delay_alu instid0(VALU_DEP_1)
	v_div_fixup_f32 v0, v0, v5, 1.0
.LBB9_36:
	v_dual_add_nc_u32 v1, s0, v1 :: v_dual_lshrrev_b32 v2, 16, v59
	v_dual_mov_b32 v7, 0 :: v_dual_lshrrev_b32 v4, 16, v60
	v_cvt_f32_f16_e32 v8, v59
	s_delay_alu instid0(VALU_DEP_3) | instskip(NEXT) | instid1(VALU_DEP_4)
	v_lshl_add_u32 v6, v1, 7, v39
	v_cvt_f32_f16_e32 v9, v2
	v_cvt_f32_f16_e32 v10, v60
	;; [unrolled: 1-line block ×3, first 2 shown]
	s_delay_alu instid0(VALU_DEP_4) | instskip(NEXT) | instid1(VALU_DEP_4)
	v_lshl_add_u64 v[12:13], v[6:7], 2, s[16:17]
	v_pk_mul_f32 v[6:7], v[0:1], v[8:9] op_sel_hi:[0,1]
	s_delay_alu instid0(VALU_DEP_3)
	v_pk_mul_f32 v[8:9], v[0:1], v[10:11] op_sel_hi:[0,1]
	global_store_b128 v[12:13], v[6:9], off
	s_wait_xcnt 0x0
	s_and_b32 exec_lo, exec_lo, s1
	s_cbranch_execz .LBB9_38
; %bb.37:
	v_mov_b32_e32 v4, v3
	global_store_b64 v1, v[4:5], s[18:19] scale_offset
.LBB9_38:
	s_sendmsg sendmsg(MSG_DEALLOC_VGPRS)
	s_endpgm
	.section	.rodata,"a",@progbits
	.p2align	6, 0x0
	.amdhsa_kernel _ZL15flash_attn_tileILi192ELi128ELi4ELi8ELb0EEvPKcS1_S1_S1_S1_PKiPfP15HIP_vector_typeIfLj2EEffffjfiS5_IjLj3EEiiiiiiiiiiiliiliiiiil
		.amdhsa_group_segment_fixed_size 25600
		.amdhsa_private_segment_fixed_size 0
		.amdhsa_kernarg_size 464
		.amdhsa_user_sgpr_count 2
		.amdhsa_user_sgpr_dispatch_ptr 0
		.amdhsa_user_sgpr_queue_ptr 0
		.amdhsa_user_sgpr_kernarg_segment_ptr 1
		.amdhsa_user_sgpr_dispatch_id 0
		.amdhsa_user_sgpr_kernarg_preload_length 0
		.amdhsa_user_sgpr_kernarg_preload_offset 0
		.amdhsa_user_sgpr_private_segment_size 0
		.amdhsa_wavefront_size32 1
		.amdhsa_uses_dynamic_stack 0
		.amdhsa_enable_private_segment 0
		.amdhsa_system_sgpr_workgroup_id_x 1
		.amdhsa_system_sgpr_workgroup_id_y 1
		.amdhsa_system_sgpr_workgroup_id_z 1
		.amdhsa_system_sgpr_workgroup_info 0
		.amdhsa_system_vgpr_workitem_id 1
		.amdhsa_next_free_vgpr 119
		.amdhsa_next_free_sgpr 43
		.amdhsa_named_barrier_count 0
		.amdhsa_reserve_vcc 1
		.amdhsa_float_round_mode_32 0
		.amdhsa_float_round_mode_16_64 0
		.amdhsa_float_denorm_mode_32 3
		.amdhsa_float_denorm_mode_16_64 3
		.amdhsa_fp16_overflow 0
		.amdhsa_memory_ordered 1
		.amdhsa_forward_progress 1
		.amdhsa_inst_pref_size 145
		.amdhsa_round_robin_scheduling 0
		.amdhsa_exception_fp_ieee_invalid_op 0
		.amdhsa_exception_fp_denorm_src 0
		.amdhsa_exception_fp_ieee_div_zero 0
		.amdhsa_exception_fp_ieee_overflow 0
		.amdhsa_exception_fp_ieee_underflow 0
		.amdhsa_exception_fp_ieee_inexact 0
		.amdhsa_exception_int_div_zero 0
	.end_amdhsa_kernel
	.section	.text._ZL15flash_attn_tileILi192ELi128ELi4ELi8ELb0EEvPKcS1_S1_S1_S1_PKiPfP15HIP_vector_typeIfLj2EEffffjfiS5_IjLj3EEiiiiiiiiiiiliiliiiiil,"axG",@progbits,_ZL15flash_attn_tileILi192ELi128ELi4ELi8ELb0EEvPKcS1_S1_S1_S1_PKiPfP15HIP_vector_typeIfLj2EEffffjfiS5_IjLj3EEiiiiiiiiiiiliiliiiiil,comdat
.Lfunc_end9:
	.size	_ZL15flash_attn_tileILi192ELi128ELi4ELi8ELb0EEvPKcS1_S1_S1_S1_PKiPfP15HIP_vector_typeIfLj2EEffffjfiS5_IjLj3EEiiiiiiiiiiiliiliiiiil, .Lfunc_end9-_ZL15flash_attn_tileILi192ELi128ELi4ELi8ELb0EEvPKcS1_S1_S1_S1_PKiPfP15HIP_vector_typeIfLj2EEffffjfiS5_IjLj3EEiiiiiiiiiiiliiliiiiil
                                        ; -- End function
	.set _ZL15flash_attn_tileILi192ELi128ELi4ELi8ELb0EEvPKcS1_S1_S1_S1_PKiPfP15HIP_vector_typeIfLj2EEffffjfiS5_IjLj3EEiiiiiiiiiiiliiliiiiil.num_vgpr, 119
	.set _ZL15flash_attn_tileILi192ELi128ELi4ELi8ELb0EEvPKcS1_S1_S1_S1_PKiPfP15HIP_vector_typeIfLj2EEffffjfiS5_IjLj3EEiiiiiiiiiiiliiliiiiil.num_agpr, 0
	.set _ZL15flash_attn_tileILi192ELi128ELi4ELi8ELb0EEvPKcS1_S1_S1_S1_PKiPfP15HIP_vector_typeIfLj2EEffffjfiS5_IjLj3EEiiiiiiiiiiiliiliiiiil.numbered_sgpr, 43
	.set _ZL15flash_attn_tileILi192ELi128ELi4ELi8ELb0EEvPKcS1_S1_S1_S1_PKiPfP15HIP_vector_typeIfLj2EEffffjfiS5_IjLj3EEiiiiiiiiiiiliiliiiiil.num_named_barrier, 0
	.set _ZL15flash_attn_tileILi192ELi128ELi4ELi8ELb0EEvPKcS1_S1_S1_S1_PKiPfP15HIP_vector_typeIfLj2EEffffjfiS5_IjLj3EEiiiiiiiiiiiliiliiiiil.private_seg_size, 0
	.set _ZL15flash_attn_tileILi192ELi128ELi4ELi8ELb0EEvPKcS1_S1_S1_S1_PKiPfP15HIP_vector_typeIfLj2EEffffjfiS5_IjLj3EEiiiiiiiiiiiliiliiiiil.uses_vcc, 1
	.set _ZL15flash_attn_tileILi192ELi128ELi4ELi8ELb0EEvPKcS1_S1_S1_S1_PKiPfP15HIP_vector_typeIfLj2EEffffjfiS5_IjLj3EEiiiiiiiiiiiliiliiiiil.uses_flat_scratch, 0
	.set _ZL15flash_attn_tileILi192ELi128ELi4ELi8ELb0EEvPKcS1_S1_S1_S1_PKiPfP15HIP_vector_typeIfLj2EEffffjfiS5_IjLj3EEiiiiiiiiiiiliiliiiiil.has_dyn_sized_stack, 0
	.set _ZL15flash_attn_tileILi192ELi128ELi4ELi8ELb0EEvPKcS1_S1_S1_S1_PKiPfP15HIP_vector_typeIfLj2EEffffjfiS5_IjLj3EEiiiiiiiiiiiliiliiiiil.has_recursion, 0
	.set _ZL15flash_attn_tileILi192ELi128ELi4ELi8ELb0EEvPKcS1_S1_S1_S1_PKiPfP15HIP_vector_typeIfLj2EEffffjfiS5_IjLj3EEiiiiiiiiiiiliiliiiiil.has_indirect_call, 0
	.section	.AMDGPU.csdata,"",@progbits
; Kernel info:
; codeLenInByte = 18520
; TotalNumSgprs: 45
; NumVgprs: 119
; ScratchSize: 0
; MemoryBound: 0
; FloatMode: 240
; IeeeMode: 1
; LDSByteSize: 25600 bytes/workgroup (compile time only)
; SGPRBlocks: 0
; VGPRBlocks: 7
; NumSGPRsForWavesPerEU: 45
; NumVGPRsForWavesPerEU: 119
; NamedBarCnt: 0
; Occupancy: 8
; WaveLimiterHint : 1
; COMPUTE_PGM_RSRC2:SCRATCH_EN: 0
; COMPUTE_PGM_RSRC2:USER_SGPR: 2
; COMPUTE_PGM_RSRC2:TRAP_HANDLER: 0
; COMPUTE_PGM_RSRC2:TGID_X_EN: 1
; COMPUTE_PGM_RSRC2:TGID_Y_EN: 1
; COMPUTE_PGM_RSRC2:TGID_Z_EN: 1
; COMPUTE_PGM_RSRC2:TIDIG_COMP_CNT: 1
	.section	.text._ZL25flash_attn_mask_to_KV_maxILi4EEvPK7__half2Piiii,"axG",@progbits,_ZL25flash_attn_mask_to_KV_maxILi4EEvPK7__half2Piiii,comdat
	.globl	_ZL25flash_attn_mask_to_KV_maxILi4EEvPK7__half2Piiii ; -- Begin function _ZL25flash_attn_mask_to_KV_maxILi4EEvPK7__half2Piiii
	.p2align	8
	.type	_ZL25flash_attn_mask_to_KV_maxILi4EEvPK7__half2Piiii,@function
_ZL25flash_attn_mask_to_KV_maxILi4EEvPK7__half2Piiii: ; @_ZL25flash_attn_mask_to_KV_maxILi4EEvPK7__half2Piiii
; %bb.0:
	s_load_b128 s[4:7], s[0:1], 0x0
	s_mov_b32 s2, exec_lo
	v_cmpx_gt_u32_e32 32, v0
; %bb.1:
	v_dual_mov_b32 v2, 1 :: v_dual_lshlrev_b32 v1, 2, v0
	ds_store_b32 v1, v2
; %bb.2:
	s_or_b32 exec_lo, exec_lo, s2
	s_clause 0x1
	s_load_b96 s[8:10], s[0:1], 0x10
	s_load_b32 s11, s[0:1], 0x20
	s_wait_xcnt 0x0
	s_bfe_u32 s1, ttmp6, 0x4000c
	s_bfe_u32 s2, ttmp6, 0x40010
	s_add_co_i32 s1, s1, 1
	s_add_co_i32 s2, s2, 1
	s_and_b32 s0, ttmp6, 15
	s_bfe_u32 s3, ttmp6, 0x40004
	s_mul_i32 s1, ttmp9, s1
	s_mul_i32 s2, ttmp7, s2
	s_getreg_b32 s12, hwreg(HW_REG_IB_STS2, 6, 4)
	s_add_co_i32 s0, s0, s1
	s_add_co_i32 s3, s3, s2
	s_cmp_eq_u32 s12, 0
	v_dual_lshrrev_b32 v1, 3, v0 :: v_dual_bitop2_b32 v2, 31, v0 bitop3:0x40
	s_cselect_b32 s1, ttmp9, s0
	s_cselect_b32 s12, ttmp7, s3
	s_wait_dscnt 0x0
	s_barrier_signal -1
	s_wait_kmcnt 0x0
	s_mul_i32 s0, s1, s9
	s_mul_i32 s2, s10, s12
	s_lshl_b32 s0, s0, 2
	s_barrier_wait -1
	s_add_co_i32 s2, s2, s0
	v_cmp_eq_u32_e64 s0, 0, v2
	s_ashr_i32 s3, s2, 31
	v_lshlrev_b32_e32 v2, 2, v2
	s_lshl_b64 s[2:3], s[2:3], 2
	s_delay_alu instid0(SALU_CYCLE_1)
	s_add_nc_u64 s[2:3], s[4:5], s[2:3]
	s_lshl_b32 s5, s8, 8
	s_branch .LBB10_4
.LBB10_3:                               ;   in Loop: Header=BB10_4 Depth=1
	s_or_b32 exec_lo, exec_lo, s8
	s_wait_dscnt 0x0
	s_barrier_signal -1
	s_barrier_wait -1
	ds_load_b32 v3, v2
	s_wait_dscnt 0x0
	s_barrier_signal -1
	s_barrier_wait -1
	v_cmp_ne_u32_e32 vcc_lo, 0, v3
	s_cmp_lg_u32 vcc_lo, exec_lo
	s_cselect_b32 s8, -1, 0
	s_delay_alu instid0(SALU_CYCLE_1)
	s_and_b32 vcc_lo, exec_lo, s8
	s_cbranch_vccnz .LBB10_20
.LBB10_4:                               ; =>This Inner Loop Header: Depth=1
	s_mov_b32 s4, s5
	s_addk_co_i32 s5, 0xff00
	s_delay_alu instid0(SALU_CYCLE_1)
	s_cmp_lt_i32 s5, 0
	s_cbranch_scc1 .LBB10_19
; %bb.5:                                ;   in Loop: Header=BB10_4 Depth=1
	s_lshr_b32 s8, s5, 1
	s_delay_alu instid0(SALU_CYCLE_1) | instskip(SKIP_4) | instid1(VALU_DEP_2)
	v_add_nc_u32_e32 v3, s8, v0
	global_load_b32 v4, v3, s[2:3] scale_offset
	s_wait_loadcnt 0x0
	v_lshrrev_b32_e32 v5, 16, v4
	v_cmp_class_f16_e64 s8, v4, 0x204
	v_cmp_class_f16_e64 s10, v5, 0x204
	s_and_b32 s13, s8, s10
	s_mov_b32 s10, 0
	s_and_saveexec_b32 s8, s13
	s_cbranch_execz .LBB10_17
; %bb.6:                                ;   in Loop: Header=BB10_4 Depth=1
	v_add_nc_u32_e32 v3, s9, v3
	s_mov_b32 s13, 0
	global_load_b32 v4, v3, s[2:3] scale_offset
	s_wait_loadcnt 0x0
	v_cmp_class_f16_e64 s14, v4, 0x204
	s_and_saveexec_b32 s10, s14
	s_cbranch_execz .LBB10_16
; %bb.7:                                ;   in Loop: Header=BB10_4 Depth=1
	v_lshrrev_b32_e32 v4, 16, v4
	s_mov_b32 s14, 0
	s_delay_alu instid0(VALU_DEP_1)
	v_cmp_class_f16_e64 s15, v4, 0x204
	s_and_saveexec_b32 s13, s15
	s_cbranch_execz .LBB10_15
; %bb.8:                                ;   in Loop: Header=BB10_4 Depth=1
	v_add_nc_u32_e32 v3, s9, v3
	s_mov_b32 s15, 0
	global_load_b32 v4, v3, s[2:3] scale_offset
	s_wait_loadcnt 0x0
	v_cmp_class_f16_e64 s16, v4, 0x204
	s_and_saveexec_b32 s14, s16
	s_cbranch_execz .LBB10_14
; %bb.9:                                ;   in Loop: Header=BB10_4 Depth=1
	v_lshrrev_b32_e32 v4, 16, v4
	s_mov_b32 s16, 0
	s_delay_alu instid0(VALU_DEP_1)
	v_cmp_class_f16_e64 s17, v4, 0x204
	s_and_saveexec_b32 s15, s17
	s_cbranch_execz .LBB10_13
; %bb.10:                               ;   in Loop: Header=BB10_4 Depth=1
	v_add_nc_u32_e32 v3, s9, v3
	global_load_b32 v3, v3, s[2:3] scale_offset
	s_wait_loadcnt 0x0
	v_cmp_class_f16_e64 s18, v3, 0x204
	s_and_saveexec_b32 s17, s18
; %bb.11:                               ;   in Loop: Header=BB10_4 Depth=1
	v_lshrrev_b32_e32 v3, 16, v3
	s_delay_alu instid0(VALU_DEP_1)
	v_cmp_class_f16_e64 s16, v3, 0x204
	s_and_b32 s16, s16, exec_lo
; %bb.12:                               ;   in Loop: Header=BB10_4 Depth=1
	s_or_b32 exec_lo, exec_lo, s17
	s_delay_alu instid0(SALU_CYCLE_1)
	s_and_b32 s16, s16, exec_lo
.LBB10_13:                              ;   in Loop: Header=BB10_4 Depth=1
	s_or_b32 exec_lo, exec_lo, s15
	s_delay_alu instid0(SALU_CYCLE_1)
	s_and_b32 s15, s16, exec_lo
.LBB10_14:                              ;   in Loop: Header=BB10_4 Depth=1
	s_or_b32 exec_lo, exec_lo, s14
	s_delay_alu instid0(SALU_CYCLE_1)
	s_and_b32 s14, s15, exec_lo
.LBB10_15:                              ;   in Loop: Header=BB10_4 Depth=1
	s_or_b32 exec_lo, exec_lo, s13
	s_delay_alu instid0(SALU_CYCLE_1)
	s_and_b32 s13, s14, exec_lo
.LBB10_16:                              ;   in Loop: Header=BB10_4 Depth=1
	s_or_b32 exec_lo, exec_lo, s10
	s_delay_alu instid0(SALU_CYCLE_1)
	s_and_b32 s10, s13, exec_lo
.LBB10_17:                              ;   in Loop: Header=BB10_4 Depth=1
	s_or_b32 exec_lo, exec_lo, s8
	v_cndmask_b32_e64 v3, 0, 1, s10
	s_mov_b32 s13, exec_lo
	s_delay_alu instid0(VALU_DEP_1)
	v_cmp_ne_u32_e32 vcc_lo, 0, v3
	s_and_saveexec_b32 s8, s0
	s_cbranch_execz .LBB10_3
; %bb.18:                               ;   in Loop: Header=BB10_4 Depth=1
	s_cmp_eq_u32 vcc_lo, s13
	s_cselect_b32 s10, -1, 0
	s_delay_alu instid0(SALU_CYCLE_1)
	v_cndmask_b32_e64 v3, 0, 1, s10
	ds_store_b32 v1, v3
	s_branch .LBB10_3
.LBB10_19:                              ;   in Loop: Header=BB10_4 Depth=1
	s_cbranch_execz .LBB10_4
.LBB10_20:
	s_mov_b32 s0, exec_lo
	v_cmpx_eq_u32_e32 0, v0
	s_cbranch_execz .LBB10_22
; %bb.21:
	s_mul_i32 s0, s11, s12
	v_mov_b32_e32 v1, s4
	s_add_co_i32 s0, s0, s1
	s_delay_alu instid0(SALU_CYCLE_1)
	v_mov_b32_e32 v0, s0
	global_store_b32 v0, v1, s[6:7] scale_offset
.LBB10_22:
	s_endpgm
	.section	.rodata,"a",@progbits
	.p2align	6, 0x0
	.amdhsa_kernel _ZL25flash_attn_mask_to_KV_maxILi4EEvPK7__half2Piiii
		.amdhsa_group_segment_fixed_size 128
		.amdhsa_private_segment_fixed_size 0
		.amdhsa_kernarg_size 288
		.amdhsa_user_sgpr_count 2
		.amdhsa_user_sgpr_dispatch_ptr 0
		.amdhsa_user_sgpr_queue_ptr 0
		.amdhsa_user_sgpr_kernarg_segment_ptr 1
		.amdhsa_user_sgpr_dispatch_id 0
		.amdhsa_user_sgpr_kernarg_preload_length 0
		.amdhsa_user_sgpr_kernarg_preload_offset 0
		.amdhsa_user_sgpr_private_segment_size 0
		.amdhsa_wavefront_size32 1
		.amdhsa_uses_dynamic_stack 0
		.amdhsa_enable_private_segment 0
		.amdhsa_system_sgpr_workgroup_id_x 1
		.amdhsa_system_sgpr_workgroup_id_y 1
		.amdhsa_system_sgpr_workgroup_id_z 0
		.amdhsa_system_sgpr_workgroup_info 0
		.amdhsa_system_vgpr_workitem_id 0
		.amdhsa_next_free_vgpr 6
		.amdhsa_next_free_sgpr 19
		.amdhsa_named_barrier_count 0
		.amdhsa_reserve_vcc 1
		.amdhsa_float_round_mode_32 0
		.amdhsa_float_round_mode_16_64 0
		.amdhsa_float_denorm_mode_32 3
		.amdhsa_float_denorm_mode_16_64 3
		.amdhsa_fp16_overflow 0
		.amdhsa_memory_ordered 1
		.amdhsa_forward_progress 1
		.amdhsa_inst_pref_size 6
		.amdhsa_round_robin_scheduling 0
		.amdhsa_exception_fp_ieee_invalid_op 0
		.amdhsa_exception_fp_denorm_src 0
		.amdhsa_exception_fp_ieee_div_zero 0
		.amdhsa_exception_fp_ieee_overflow 0
		.amdhsa_exception_fp_ieee_underflow 0
		.amdhsa_exception_fp_ieee_inexact 0
		.amdhsa_exception_int_div_zero 0
	.end_amdhsa_kernel
	.section	.text._ZL25flash_attn_mask_to_KV_maxILi4EEvPK7__half2Piiii,"axG",@progbits,_ZL25flash_attn_mask_to_KV_maxILi4EEvPK7__half2Piiii,comdat
.Lfunc_end10:
	.size	_ZL25flash_attn_mask_to_KV_maxILi4EEvPK7__half2Piiii, .Lfunc_end10-_ZL25flash_attn_mask_to_KV_maxILi4EEvPK7__half2Piiii
                                        ; -- End function
	.set _ZL25flash_attn_mask_to_KV_maxILi4EEvPK7__half2Piiii.num_vgpr, 6
	.set _ZL25flash_attn_mask_to_KV_maxILi4EEvPK7__half2Piiii.num_agpr, 0
	.set _ZL25flash_attn_mask_to_KV_maxILi4EEvPK7__half2Piiii.numbered_sgpr, 19
	.set _ZL25flash_attn_mask_to_KV_maxILi4EEvPK7__half2Piiii.num_named_barrier, 0
	.set _ZL25flash_attn_mask_to_KV_maxILi4EEvPK7__half2Piiii.private_seg_size, 0
	.set _ZL25flash_attn_mask_to_KV_maxILi4EEvPK7__half2Piiii.uses_vcc, 1
	.set _ZL25flash_attn_mask_to_KV_maxILi4EEvPK7__half2Piiii.uses_flat_scratch, 0
	.set _ZL25flash_attn_mask_to_KV_maxILi4EEvPK7__half2Piiii.has_dyn_sized_stack, 0
	.set _ZL25flash_attn_mask_to_KV_maxILi4EEvPK7__half2Piiii.has_recursion, 0
	.set _ZL25flash_attn_mask_to_KV_maxILi4EEvPK7__half2Piiii.has_indirect_call, 0
	.section	.AMDGPU.csdata,"",@progbits
; Kernel info:
; codeLenInByte = 748
; TotalNumSgprs: 21
; NumVgprs: 6
; ScratchSize: 0
; MemoryBound: 0
; FloatMode: 240
; IeeeMode: 1
; LDSByteSize: 128 bytes/workgroup (compile time only)
; SGPRBlocks: 0
; VGPRBlocks: 0
; NumSGPRsForWavesPerEU: 21
; NumVGPRsForWavesPerEU: 6
; NamedBarCnt: 0
; Occupancy: 16
; WaveLimiterHint : 0
; COMPUTE_PGM_RSRC2:SCRATCH_EN: 0
; COMPUTE_PGM_RSRC2:USER_SGPR: 2
; COMPUTE_PGM_RSRC2:TRAP_HANDLER: 0
; COMPUTE_PGM_RSRC2:TGID_X_EN: 1
; COMPUTE_PGM_RSRC2:TGID_Y_EN: 1
; COMPUTE_PGM_RSRC2:TGID_Z_EN: 0
; COMPUTE_PGM_RSRC2:TIDIG_COMP_CNT: 0
	.section	.text._ZL33flash_attn_stream_k_fixup_uniformILi128ELi4ELi8EEvPfPK15HIP_vector_typeIfLj2EEiiiiiiS1_IjLj3EES5_S5_,"axG",@progbits,_ZL33flash_attn_stream_k_fixup_uniformILi128ELi4ELi8EEvPfPK15HIP_vector_typeIfLj2EEiiiiiiS1_IjLj3EES5_S5_,comdat
	.globl	_ZL33flash_attn_stream_k_fixup_uniformILi128ELi4ELi8EEvPfPK15HIP_vector_typeIfLj2EEiiiiiiS1_IjLj3EES5_S5_ ; -- Begin function _ZL33flash_attn_stream_k_fixup_uniformILi128ELi4ELi8EEvPfPK15HIP_vector_typeIfLj2EEiiiiiiS1_IjLj3EES5_S5_
	.p2align	8
	.type	_ZL33flash_attn_stream_k_fixup_uniformILi128ELi4ELi8EEvPfPK15HIP_vector_typeIfLj2EEiiiiiiS1_IjLj3EES5_S5_,@function
_ZL33flash_attn_stream_k_fixup_uniformILi128ELi4ELi8EEvPfPK15HIP_vector_typeIfLj2EEiiiiiiS1_IjLj3EES5_S5_: ; @_ZL33flash_attn_stream_k_fixup_uniformILi128ELi4ELi8EEvPfPK15HIP_vector_typeIfLj2EEiiiiiiS1_IjLj3EES5_S5_
; %bb.0:
	s_load_b256 s[4:11], s[0:1], 0x1c
	s_bfe_u32 s2, ttmp6, 0x40014
	s_lshr_b32 s3, ttmp7, 16
	s_add_co_i32 s2, s2, 1
	s_bfe_u32 s13, ttmp6, 0x40010
	s_mul_i32 s2, s3, s2
	s_bfe_u32 s12, ttmp6, 0x40008
	s_and_b32 s15, ttmp7, 0xffff
	s_add_co_i32 s13, s13, 1
	s_bfe_u32 s14, ttmp6, 0x4000c
	s_add_co_i32 s12, s12, s2
	s_mul_i32 s2, s15, s13
	s_bfe_u32 s13, ttmp6, 0x40004
	s_add_co_i32 s14, s14, 1
	s_add_co_i32 s13, s13, s2
	s_and_b32 s2, ttmp6, 15
	s_mul_i32 s14, ttmp9, s14
	s_getreg_b32 s20, hwreg(HW_REG_IB_STS2, 6, 4)
	s_add_co_i32 s2, s2, s14
	s_load_b128 s[16:19], s[0:1], 0x3c
	s_cmp_eq_u32 s20, 0
	s_cselect_b32 s14, ttmp9, s2
	s_cselect_b32 s13, s15, s13
	s_wait_kmcnt 0x0
	s_mul_hi_u32 s2, s7, s14
	s_cselect_b32 s12, s3, s12
	s_add_co_i32 s2, s14, s2
	s_delay_alu instid0(SALU_CYCLE_1) | instskip(NEXT) | instid1(SALU_CYCLE_1)
	s_lshr_b32 s7, s2, s8
	s_mul_i32 s2, s7, s9
	s_delay_alu instid0(SALU_CYCLE_1) | instskip(NEXT) | instid1(SALU_CYCLE_1)
	s_sub_co_i32 s8, s14, s2
	s_mul_hi_u32 s2, s8, s10
	s_delay_alu instid0(SALU_CYCLE_1) | instskip(SKIP_2) | instid1(SALU_CYCLE_1)
	s_add_co_i32 s9, s8, s2
	s_load_b64 s[2:3], s[0:1], 0x10
	s_lshr_b32 s15, s9, s11
	s_mul_i32 s9, s15, s16
	s_delay_alu instid0(SALU_CYCLE_1) | instskip(NEXT) | instid1(SALU_CYCLE_1)
	s_sub_co_i32 s8, s8, s9
	s_mul_hi_u32 s9, s8, s17
	s_delay_alu instid0(SALU_CYCLE_1) | instskip(NEXT) | instid1(SALU_CYCLE_1)
	s_add_co_i32 s9, s8, s9
	s_lshr_b32 s9, s9, s18
	s_delay_alu instid0(SALU_CYCLE_1) | instskip(SKIP_2) | instid1(SALU_CYCLE_1)
	s_mul_i32 s10, s9, s19
	s_lshl_b32 s17, s9, 3
	s_sub_co_i32 s16, s8, s10
	s_lshl_b32 s8, s16, 2
	s_delay_alu instid0(SALU_CYCLE_1) | instskip(SKIP_4) | instid1(SALU_CYCLE_1)
	s_add_co_i32 s8, s8, s13
	s_wait_kmcnt 0x0
	s_cmp_lt_i32 s8, s2
	s_cselect_b32 s8, -1, 0
	s_add_co_i32 s9, s17, s12
	s_cmp_lt_i32 s9, s5
	s_cselect_b32 s9, -1, 0
	s_delay_alu instid0(SALU_CYCLE_1) | instskip(NEXT) | instid1(SALU_CYCLE_1)
	s_and_b32 s8, s8, s9
	s_and_not1_b32 vcc_lo, exec_lo, s8
	s_cbranch_vccnz .LBB11_6
; %bb.1:
	s_mul_i32 s2, s7, s2
	s_load_b128 s[8:11], s[0:1], 0x0
	s_wait_xcnt 0x0
	s_add_co_i32 s0, s2, s13
	s_mul_i32 s15, s15, s5
	s_mul_i32 s0, s0, s3
	;; [unrolled: 1-line block ×3, first 2 shown]
	s_add_co_i32 s0, s0, s12
	s_lshl_b32 s1, s1, 9
	s_add_co_i32 s0, s0, s15
	s_mul_i32 s7, s6, s14
	s_add_co_i32 s0, s0, s17
	s_lshl_b32 s5, s13, 3
	s_lshl_b32 s0, s0, 7
	s_add_co_i32 s15, s7, s6
	s_add_co_i32 s1, s1, s0
	;; [unrolled: 1-line block ×3, first 2 shown]
	v_or_b32_e32 v4, s1, v0
	s_lshl_b32 s1, s15, 5
	s_add_co_i32 s2, s15, -2
	s_add_co_i32 s0, s0, s1
	s_delay_alu instid0(SALU_CYCLE_1)
	s_sub_co_i32 s0, s0, 32
	s_wait_kmcnt 0x0
	global_load_b32 v3, v4, s[8:9] scale_offset
	s_ashr_i32 s1, s0, 31
	v_ashrrev_i32_e32 v5, 31, v4
	s_lshl_b64 s[0:1], s[0:1], 3
	s_cmp_lt_i32 s2, s7
	s_add_nc_u64 s[0:1], s[10:11], s[0:1]
	s_load_b32 s16, s[0:1], 0x4
	s_cbranch_scc1 .LBB11_4
; %bb.2:
	s_wait_xcnt 0x0
	s_load_b32 s0, s[0:1], 0x0
	s_add_co_i32 s14, s14, 1
	s_lshl_b32 s3, s13, 10
	s_wait_xcnt 0x0
	s_mul_i32 s1, s6, s14
	s_lshl_b32 s6, s12, 7
	s_lshl_b32 s13, s1, 12
	s_add_co_i32 s6, s6, s3
	s_lshl_b32 s1, s1, 5
	s_add_co_i32 s6, s6, s13
	s_lshl_b32 s2, s4, 7
	s_wait_kmcnt 0x0
	v_dual_mov_b32 v2, s16 :: v_dual_bitop2_b32 v0, s6, v0 bitop3:0x54
	s_add_co_i32 s1, s12, s1
	s_lshl_b32 s4, s4, 5
	s_ashr_i32 s3, s2, 31
	s_add_co_i32 s1, s1, s4
	v_add_nc_u32_e32 v0, 0xffffe000, v0
	s_lshl_b64 s[2:3], s[2:3], 2
	s_add_co_i32 s4, s1, s5
	s_add_nc_u64 s[2:3], s[10:11], s[2:3]
	s_add_co_i32 s1, s15, -1
	s_sub_co_i32 s4, s4, 64
.LBB11_3:                               ; =>This Inner Loop Header: Depth=1
	global_load_b32 v7, v0, s[2:3] scale_offset
	s_ashr_i32 s5, s4, 31
	v_max_num_f32_e64 v1, s0, s0
	s_lshl_b64 s[12:13], s[4:5], 3
	s_delay_alu instid0(SALU_CYCLE_1) | instskip(SKIP_1) | instid1(VALU_DEP_1)
	s_add_nc_u64 s[12:13], s[10:11], s[12:13]
	s_load_b64 s[12:13], s[12:13], 0x0
	v_readfirstlane_b32 s5, v1
	v_add_nc_u32_e32 v0, 0xfffff000, v0
	s_wait_kmcnt 0x0
	v_max_num_f32_e64 v1, s12, s12
	s_delay_alu instid0(VALU_DEP_1) | instskip(SKIP_1) | instid1(SALU_CYCLE_3)
	v_readfirstlane_b32 s6, v1
	s_max_num_f32 s5, s5, s6
	s_sub_f32 s0, s0, s5
	s_sub_f32 s6, s12, s5
	s_delay_alu instid0(SALU_CYCLE_2) | instskip(NEXT) | instid1(SALU_CYCLE_2)
	s_mul_f32 s12, s0, 0x3fb8aa3b
	s_mul_f32 s14, s6, 0x3fb8aa3b
	s_delay_alu instid0(SALU_CYCLE_2)
	s_xor_b32 s15, s12, 0x80000000
	s_rndne_f32 s16, s12
	s_fmamk_f32 s15, s0, 0x3fb8aa3b, s15
	s_cmp_nlt_f32 s0, 0xc2ce8ed0
	s_rndne_f32 s17, s14
	s_sub_f32 s12, s12, s16
	s_fmamk_f32 s15, s0, 0x32a5705f, s15
	s_cselect_b32 vcc_lo, -1, 0
	s_cmp_ngt_f32 s0, 0x42b17218
	s_delay_alu instid0(SALU_CYCLE_1) | instskip(SKIP_2) | instid1(SALU_CYCLE_1)
	s_add_f32 s12, s12, s15
	s_cvt_i32_f32 s15, s16
	s_sub_f32 s16, s14, s17
	v_s_exp_f32 s12, s12
	v_nop
	s_delay_alu instid0(TRANS32_DEP_1) | instskip(SKIP_1) | instid1(VALU_DEP_1)
	v_ldexp_f32 v1, s12, s15
	s_cvt_i32_f32 s12, s17
	v_cndmask_b32_e32 v1, 0, v1, vcc_lo
	s_cselect_b32 vcc_lo, -1, 0
	s_cmp_ge_f32 s0, 0xc1a00000
	s_delay_alu instid0(VALU_DEP_1)
	v_cndmask_b32_e32 v1, 0x7f800000, v1, vcc_lo
	s_cselect_b32 vcc_lo, -1, 0
	s_xor_b32 s0, s14, 0x80000000
	s_cmp_nlt_f32 s6, 0xc2ce8ed0
	s_fmamk_f32 s0, s6, 0x3fb8aa3b, s0
	v_cndmask_b32_e32 v10, 0, v1, vcc_lo
	s_delay_alu instid0(SALU_CYCLE_2) | instskip(NEXT) | instid1(SALU_CYCLE_3)
	s_fmamk_f32 s0, s6, 0x32a5705f, s0
	s_add_f32 s0, s16, s0
	s_delay_alu instid0(SALU_CYCLE_3) | instskip(SKIP_1) | instid1(TRANS32_DEP_1)
	v_s_exp_f32 s0, s0
	v_nop
	v_ldexp_f32 v6, s0, s12
	s_cselect_b32 s0, -1, 0
	s_cmp_ngt_f32 s6, 0x42b17218
	s_delay_alu instid0(VALU_DEP_1) | instskip(SKIP_2) | instid1(VALU_DEP_1)
	v_cndmask_b32_e64 v6, 0, v6, s0
	s_cselect_b32 s0, -1, 0
	s_cmp_ge_f32 s6, 0xc1a00000
	v_cndmask_b32_e64 v8, 0x7f800000, v6, s0
	s_cselect_b32 s0, -1, 0
	v_mov_b32_e32 v6, s13
	s_add_co_i32 s1, s1, -1
	s_sub_co_i32 s4, s4, 32
	v_cndmask_b32_e64 v8, 0, v8, s0
	s_cmp_le_i32 s1, s7
	s_mov_b32 s0, s5
	s_wait_loadcnt 0x0
	s_delay_alu instid0(VALU_DEP_1) | instskip(NEXT) | instid1(VALU_DEP_1)
	v_pk_mul_f32 v[6:7], v[6:7], v[8:9] op_sel_hi:[1,0]
	v_pk_fma_f32 v[2:3], v[2:3], v[10:11], v[6:7] op_sel_hi:[1,0,1]
	s_cbranch_scc0 .LBB11_3
	s_branch .LBB11_5
.LBB11_4:
	s_wait_kmcnt 0x0
	v_mov_b32_e32 v2, s16
.LBB11_5:
	v_lshl_add_u64 v[0:1], v[4:5], 2, s[8:9]
	s_wait_loadcnt 0x0
	s_delay_alu instid0(VALU_DEP_2) | instskip(NEXT) | instid1(VALU_DEP_1)
	v_div_scale_f32 v4, null, v2, v2, v3
	v_rcp_f32_e32 v5, v4
	v_nop
	s_delay_alu instid0(TRANS32_DEP_1) | instskip(NEXT) | instid1(VALU_DEP_1)
	v_fma_f32 v6, -v4, v5, 1.0
	v_fmac_f32_e32 v5, v6, v5
	v_div_scale_f32 v6, vcc_lo, v3, v2, v3
	s_delay_alu instid0(VALU_DEP_1) | instskip(NEXT) | instid1(VALU_DEP_1)
	v_mul_f32_e32 v7, v6, v5
	v_fma_f32 v8, -v4, v7, v6
	s_delay_alu instid0(VALU_DEP_1) | instskip(NEXT) | instid1(VALU_DEP_1)
	v_fmac_f32_e32 v7, v8, v5
	v_fma_f32 v4, -v4, v7, v6
	s_delay_alu instid0(VALU_DEP_1) | instskip(NEXT) | instid1(VALU_DEP_1)
	v_div_fmas_f32 v4, v4, v5, v7
	v_div_fixup_f32 v2, v4, v2, v3
	global_store_b32 v[0:1], v2, off
.LBB11_6:
	s_endpgm
	.section	.rodata,"a",@progbits
	.p2align	6, 0x0
	.amdhsa_kernel _ZL33flash_attn_stream_k_fixup_uniformILi128ELi4ELi8EEvPfPK15HIP_vector_typeIfLj2EEiiiiiiS1_IjLj3EES5_S5_
		.amdhsa_group_segment_fixed_size 0
		.amdhsa_private_segment_fixed_size 0
		.amdhsa_kernarg_size 76
		.amdhsa_user_sgpr_count 2
		.amdhsa_user_sgpr_dispatch_ptr 0
		.amdhsa_user_sgpr_queue_ptr 0
		.amdhsa_user_sgpr_kernarg_segment_ptr 1
		.amdhsa_user_sgpr_dispatch_id 0
		.amdhsa_user_sgpr_kernarg_preload_length 0
		.amdhsa_user_sgpr_kernarg_preload_offset 0
		.amdhsa_user_sgpr_private_segment_size 0
		.amdhsa_wavefront_size32 1
		.amdhsa_uses_dynamic_stack 0
		.amdhsa_enable_private_segment 0
		.amdhsa_system_sgpr_workgroup_id_x 1
		.amdhsa_system_sgpr_workgroup_id_y 1
		.amdhsa_system_sgpr_workgroup_id_z 1
		.amdhsa_system_sgpr_workgroup_info 0
		.amdhsa_system_vgpr_workitem_id 0
		.amdhsa_next_free_vgpr 12
		.amdhsa_next_free_sgpr 21
		.amdhsa_named_barrier_count 0
		.amdhsa_reserve_vcc 1
		.amdhsa_float_round_mode_32 0
		.amdhsa_float_round_mode_16_64 0
		.amdhsa_float_denorm_mode_32 3
		.amdhsa_float_denorm_mode_16_64 3
		.amdhsa_fp16_overflow 0
		.amdhsa_memory_ordered 1
		.amdhsa_forward_progress 1
		.amdhsa_inst_pref_size 9
		.amdhsa_round_robin_scheduling 0
		.amdhsa_exception_fp_ieee_invalid_op 0
		.amdhsa_exception_fp_denorm_src 0
		.amdhsa_exception_fp_ieee_div_zero 0
		.amdhsa_exception_fp_ieee_overflow 0
		.amdhsa_exception_fp_ieee_underflow 0
		.amdhsa_exception_fp_ieee_inexact 0
		.amdhsa_exception_int_div_zero 0
	.end_amdhsa_kernel
	.section	.text._ZL33flash_attn_stream_k_fixup_uniformILi128ELi4ELi8EEvPfPK15HIP_vector_typeIfLj2EEiiiiiiS1_IjLj3EES5_S5_,"axG",@progbits,_ZL33flash_attn_stream_k_fixup_uniformILi128ELi4ELi8EEvPfPK15HIP_vector_typeIfLj2EEiiiiiiS1_IjLj3EES5_S5_,comdat
.Lfunc_end11:
	.size	_ZL33flash_attn_stream_k_fixup_uniformILi128ELi4ELi8EEvPfPK15HIP_vector_typeIfLj2EEiiiiiiS1_IjLj3EES5_S5_, .Lfunc_end11-_ZL33flash_attn_stream_k_fixup_uniformILi128ELi4ELi8EEvPfPK15HIP_vector_typeIfLj2EEiiiiiiS1_IjLj3EES5_S5_
                                        ; -- End function
	.set _ZL33flash_attn_stream_k_fixup_uniformILi128ELi4ELi8EEvPfPK15HIP_vector_typeIfLj2EEiiiiiiS1_IjLj3EES5_S5_.num_vgpr, 12
	.set _ZL33flash_attn_stream_k_fixup_uniformILi128ELi4ELi8EEvPfPK15HIP_vector_typeIfLj2EEiiiiiiS1_IjLj3EES5_S5_.num_agpr, 0
	.set _ZL33flash_attn_stream_k_fixup_uniformILi128ELi4ELi8EEvPfPK15HIP_vector_typeIfLj2EEiiiiiiS1_IjLj3EES5_S5_.numbered_sgpr, 21
	.set _ZL33flash_attn_stream_k_fixup_uniformILi128ELi4ELi8EEvPfPK15HIP_vector_typeIfLj2EEiiiiiiS1_IjLj3EES5_S5_.num_named_barrier, 0
	.set _ZL33flash_attn_stream_k_fixup_uniformILi128ELi4ELi8EEvPfPK15HIP_vector_typeIfLj2EEiiiiiiS1_IjLj3EES5_S5_.private_seg_size, 0
	.set _ZL33flash_attn_stream_k_fixup_uniformILi128ELi4ELi8EEvPfPK15HIP_vector_typeIfLj2EEiiiiiiS1_IjLj3EES5_S5_.uses_vcc, 1
	.set _ZL33flash_attn_stream_k_fixup_uniformILi128ELi4ELi8EEvPfPK15HIP_vector_typeIfLj2EEiiiiiiS1_IjLj3EES5_S5_.uses_flat_scratch, 0
	.set _ZL33flash_attn_stream_k_fixup_uniformILi128ELi4ELi8EEvPfPK15HIP_vector_typeIfLj2EEiiiiiiS1_IjLj3EES5_S5_.has_dyn_sized_stack, 0
	.set _ZL33flash_attn_stream_k_fixup_uniformILi128ELi4ELi8EEvPfPK15HIP_vector_typeIfLj2EEiiiiiiS1_IjLj3EES5_S5_.has_recursion, 0
	.set _ZL33flash_attn_stream_k_fixup_uniformILi128ELi4ELi8EEvPfPK15HIP_vector_typeIfLj2EEiiiiiiS1_IjLj3EES5_S5_.has_indirect_call, 0
	.section	.AMDGPU.csdata,"",@progbits
; Kernel info:
; codeLenInByte = 1092
; TotalNumSgprs: 23
; NumVgprs: 12
; ScratchSize: 0
; MemoryBound: 0
; FloatMode: 240
; IeeeMode: 1
; LDSByteSize: 0 bytes/workgroup (compile time only)
; SGPRBlocks: 0
; VGPRBlocks: 0
; NumSGPRsForWavesPerEU: 23
; NumVGPRsForWavesPerEU: 12
; NamedBarCnt: 0
; Occupancy: 16
; WaveLimiterHint : 0
; COMPUTE_PGM_RSRC2:SCRATCH_EN: 0
; COMPUTE_PGM_RSRC2:USER_SGPR: 2
; COMPUTE_PGM_RSRC2:TRAP_HANDLER: 0
; COMPUTE_PGM_RSRC2:TGID_X_EN: 1
; COMPUTE_PGM_RSRC2:TGID_Y_EN: 1
; COMPUTE_PGM_RSRC2:TGID_Z_EN: 1
; COMPUTE_PGM_RSRC2:TIDIG_COMP_CNT: 0
	.section	.text._ZL33flash_attn_stream_k_fixup_generalILi128ELi4ELi8EEvPfPK15HIP_vector_typeIfLj2EEiiiiS1_IjLj3EES5_S5_S5_,"axG",@progbits,_ZL33flash_attn_stream_k_fixup_generalILi128ELi4ELi8EEvPfPK15HIP_vector_typeIfLj2EEiiiiS1_IjLj3EES5_S5_S5_,comdat
	.globl	_ZL33flash_attn_stream_k_fixup_generalILi128ELi4ELi8EEvPfPK15HIP_vector_typeIfLj2EEiiiiS1_IjLj3EES5_S5_S5_ ; -- Begin function _ZL33flash_attn_stream_k_fixup_generalILi128ELi4ELi8EEvPfPK15HIP_vector_typeIfLj2EEiiiiS1_IjLj3EES5_S5_S5_
	.p2align	8
	.type	_ZL33flash_attn_stream_k_fixup_generalILi128ELi4ELi8EEvPfPK15HIP_vector_typeIfLj2EEiiiiS1_IjLj3EES5_S5_S5_,@function
_ZL33flash_attn_stream_k_fixup_generalILi128ELi4ELi8EEvPfPK15HIP_vector_typeIfLj2EEiiiiS1_IjLj3EES5_S5_S5_: ; @_ZL33flash_attn_stream_k_fixup_generalILi128ELi4ELi8EEvPfPK15HIP_vector_typeIfLj2EEiiiiS1_IjLj3EES5_S5_S5_
; %bb.0:
	s_clause 0x1
	s_load_b128 s[4:7], s[0:1], 0x10
	s_load_b32 s16, s[0:1], 0x50
	s_bfe_u32 s2, ttmp6, 0x4000c
	s_and_b32 s3, ttmp6, 15
	s_add_co_i32 s2, s2, 1
	s_getreg_b32 s15, hwreg(HW_REG_IB_STS2, 6, 4)
	s_mul_i32 s2, ttmp9, s2
	s_mov_b32 s17, 0
	s_add_co_i32 s3, s3, s2
	s_cmp_eq_u32 s15, 0
	s_cselect_b32 s2, ttmp9, s3
	s_delay_alu instid0(SALU_CYCLE_1) | instskip(SKIP_3) | instid1(SALU_CYCLE_1)
	s_ashr_i32 s3, s2, 31
	s_wait_kmcnt 0x0
	s_ashr_i32 s19, s7, 31
	s_mov_b32 s18, s7
	s_mul_u64 s[8:9], s[18:19], s[2:3]
	s_delay_alu instid0(SALU_CYCLE_1) | instskip(NEXT) | instid1(SALU_CYCLE_1)
	s_and_b64 s[10:11], s[8:9], 0xffffffff00000000
	s_cmp_lg_u64 s[10:11], 0
	s_cbranch_scc0 .LBB12_21
; %bb.1:
	s_add_nc_u64 s[10:11], s[16:17], 0
	s_mov_b32 s23, s17
	s_xor_b64 s[10:11], s[10:11], 0
	s_mov_b32 s27, s17
	s_cvt_f32_u32 s3, s10
	s_cvt_f32_u32 s7, s11
	s_sub_nc_u64 s[20:21], 0, s[10:11]
	s_delay_alu instid0(SALU_CYCLE_2) | instskip(NEXT) | instid1(SALU_CYCLE_3)
	s_fmamk_f32 s3, s7, 0x4f800000, s3
	v_s_rcp_f32 s3, s3
	s_delay_alu instid0(TRANS32_DEP_1) | instskip(NEXT) | instid1(SALU_CYCLE_3)
	s_mul_f32 s3, s3, 0x5f7ffffc
	s_mul_f32 s7, s3, 0x2f800000
	s_delay_alu instid0(SALU_CYCLE_3) | instskip(NEXT) | instid1(SALU_CYCLE_3)
	s_trunc_f32 s7, s7
	s_fmamk_f32 s3, s7, 0xcf800000, s3
	s_cvt_u32_f32 s13, s7
	s_delay_alu instid0(SALU_CYCLE_2) | instskip(NEXT) | instid1(SALU_CYCLE_3)
	s_cvt_u32_f32 s12, s3
	s_mul_u64 s[24:25], s[20:21], s[12:13]
	s_delay_alu instid0(SALU_CYCLE_1)
	s_mul_hi_u32 s29, s12, s25
	s_mul_i32 s28, s12, s25
	s_mul_hi_u32 s22, s12, s24
	s_mul_i32 s7, s13, s24
	s_add_nc_u64 s[22:23], s[22:23], s[28:29]
	s_mul_hi_u32 s3, s13, s24
	s_mul_hi_u32 s14, s13, s25
	s_add_co_u32 s7, s22, s7
	s_add_co_ci_u32 s26, s23, s3
	s_mul_i32 s24, s13, s25
	s_add_co_ci_u32 s25, s14, 0
	s_delay_alu instid0(SALU_CYCLE_1) | instskip(SKIP_3) | instid1(SALU_CYCLE_1)
	s_add_nc_u64 s[22:23], s[26:27], s[24:25]
	s_mov_b32 s25, s17
	s_add_co_u32 s12, s12, s22
	s_cselect_b32 s3, -1, 0
	s_cmp_lg_u32 s3, 0
	s_add_co_ci_u32 s13, s13, s23
	s_mov_b32 s23, s17
	s_mul_u64 s[20:21], s[20:21], s[12:13]
	s_delay_alu instid0(SALU_CYCLE_1)
	s_mul_hi_u32 s27, s12, s21
	s_mul_i32 s26, s12, s21
	s_mul_hi_u32 s22, s12, s20
	s_mul_i32 s7, s13, s20
	s_add_nc_u64 s[22:23], s[22:23], s[26:27]
	s_mul_hi_u32 s3, s13, s20
	s_mul_hi_u32 s14, s13, s21
	s_add_co_u32 s7, s22, s7
	s_add_co_ci_u32 s24, s23, s3
	s_mul_i32 s20, s13, s21
	s_add_co_ci_u32 s21, s14, 0
	s_mov_b32 s23, s17
	s_add_nc_u64 s[20:21], s[24:25], s[20:21]
	s_delay_alu instid0(SALU_CYCLE_1) | instskip(SKIP_1) | instid1(SALU_CYCLE_1)
	s_add_co_u32 s3, s12, s20
	s_cselect_b32 s7, -1, 0
	s_cmp_lg_u32 s7, 0
	s_add_co_ci_u32 s7, s13, s21
	s_ashr_i32 s12, s9, 31
	s_delay_alu instid0(SALU_CYCLE_1) | instskip(NEXT) | instid1(SALU_CYCLE_1)
	s_mov_b32 s13, s12
	s_add_nc_u64 s[20:21], s[8:9], s[12:13]
	s_delay_alu instid0(SALU_CYCLE_1) | instskip(NEXT) | instid1(SALU_CYCLE_1)
	s_xor_b64 s[20:21], s[20:21], s[12:13]
	s_mul_hi_u32 s27, s20, s7
	s_mul_i32 s26, s20, s7
	s_mul_hi_u32 s22, s20, s3
	s_mul_hi_u32 s14, s21, s3
	s_mul_i32 s3, s21, s3
	s_add_nc_u64 s[22:23], s[22:23], s[26:27]
	s_mul_hi_u32 s9, s21, s7
	s_add_co_u32 s3, s22, s3
	s_add_co_ci_u32 s24, s23, s14
	s_mul_i32 s26, s21, s7
	s_add_co_ci_u32 s27, s9, 0
	s_delay_alu instid0(SALU_CYCLE_1) | instskip(NEXT) | instid1(SALU_CYCLE_1)
	s_add_nc_u64 s[22:23], s[24:25], s[26:27]
	s_and_b64 s[24:25], s[22:23], 0xffffffff00000000
	s_delay_alu instid0(SALU_CYCLE_1) | instskip(NEXT) | instid1(SALU_CYCLE_1)
	s_or_b32 s24, s24, s22
	s_mul_u64 s[22:23], s[10:11], s[24:25]
	s_add_nc_u64 s[26:27], s[24:25], 1
	s_sub_co_u32 s3, s20, s22
	s_cselect_b32 s7, -1, 0
	s_sub_co_i32 s9, s21, s23
	s_cmp_lg_u32 s7, 0
	s_add_nc_u64 s[28:29], s[24:25], 2
	s_sub_co_ci_u32 s9, s9, s11
	s_sub_co_u32 s14, s3, s10
	s_cselect_b32 s20, -1, 0
	s_delay_alu instid0(SALU_CYCLE_1) | instskip(SKIP_1) | instid1(SALU_CYCLE_1)
	s_cmp_lg_u32 s20, 0
	s_sub_co_ci_u32 s9, s9, 0
	s_cmp_ge_u32 s9, s11
	s_cselect_b32 s20, -1, 0
	s_cmp_ge_u32 s14, s10
	s_cselect_b32 s14, -1, 0
	s_cmp_eq_u32 s9, s11
	s_cselect_b32 s9, s14, s20
	s_delay_alu instid0(SALU_CYCLE_1) | instskip(SKIP_4) | instid1(SALU_CYCLE_1)
	s_cmp_lg_u32 s9, 0
	s_cselect_b32 s9, s28, s26
	s_cselect_b32 s14, s29, s27
	s_cmp_lg_u32 s7, 0
	s_sub_co_ci_u32 s7, s21, s23
	s_cmp_ge_u32 s7, s11
	s_cselect_b32 s20, -1, 0
	s_cmp_ge_u32 s3, s10
	s_cselect_b32 s3, -1, 0
	s_cmp_eq_u32 s7, s11
	s_cselect_b32 s3, s3, s20
	s_delay_alu instid0(SALU_CYCLE_1) | instskip(SKIP_4) | instid1(SALU_CYCLE_1)
	s_cmp_lg_u32 s3, 0
	s_mov_b32 s3, s17
	s_cselect_b32 s11, s14, s25
	s_cselect_b32 s10, s9, s24
	s_xor_b64 s[12:13], s[12:13], 0
	s_xor_b64 s[10:11], s[10:11], s[12:13]
	s_delay_alu instid0(SALU_CYCLE_1)
	s_sub_nc_u64 s[20:21], s[10:11], s[12:13]
	s_and_not1_b32 vcc_lo, exec_lo, s3
	s_cbranch_vccnz .LBB12_3
.LBB12_2:
	v_cvt_f32_u32_e32 v1, s16
	s_sub_co_i32 s7, 0, s16
	s_mov_b32 s21, 0
	s_delay_alu instid0(VALU_DEP_1) | instskip(SKIP_1) | instid1(TRANS32_DEP_1)
	v_rcp_iflag_f32_e32 v1, v1
	v_nop
	v_mul_f32_e32 v1, 0x4f7ffffe, v1
	s_delay_alu instid0(VALU_DEP_1) | instskip(NEXT) | instid1(VALU_DEP_1)
	v_cvt_u32_f32_e32 v1, v1
	v_readfirstlane_b32 s3, v1
	s_mul_i32 s7, s7, s3
	s_delay_alu instid0(SALU_CYCLE_1) | instskip(NEXT) | instid1(SALU_CYCLE_1)
	s_mul_hi_u32 s7, s3, s7
	s_add_co_i32 s3, s3, s7
	s_delay_alu instid0(SALU_CYCLE_1) | instskip(NEXT) | instid1(SALU_CYCLE_1)
	s_mul_hi_u32 s3, s8, s3
	s_mul_i32 s7, s3, s16
	s_delay_alu instid0(SALU_CYCLE_1)
	s_sub_co_i32 s7, s8, s7
	s_add_co_i32 s8, s3, 1
	s_sub_co_i32 s9, s7, s16
	s_cmp_ge_u32 s7, s16
	s_cselect_b32 s3, s8, s3
	s_cselect_b32 s7, s9, s7
	s_add_co_i32 s8, s3, 1
	s_cmp_ge_u32 s7, s16
	s_cselect_b32 s20, s8, s3
.LBB12_3:
	s_add_co_i32 s8, s2, 1
	s_delay_alu instid0(SALU_CYCLE_1) | instskip(NEXT) | instid1(SALU_CYCLE_1)
	s_ashr_i32 s9, s8, 31
	s_mul_u64 s[8:9], s[18:19], s[8:9]
	s_delay_alu instid0(SALU_CYCLE_1) | instskip(NEXT) | instid1(SALU_CYCLE_1)
	s_and_b64 s[10:11], s[8:9], 0xffffffff00000000
	s_cmp_lg_u64 s[10:11], 0
	s_cbranch_scc0 .LBB12_22
; %bb.4:
	s_add_nc_u64 s[10:11], s[16:17], 0
	s_delay_alu instid0(SALU_CYCLE_1) | instskip(SKIP_4) | instid1(SALU_CYCLE_2)
	s_xor_b64 s[12:13], s[10:11], 0
	s_mov_b32 s11, 0
	s_cvt_f32_u32 s3, s12
	s_cvt_f32_u32 s7, s13
	s_sub_nc_u64 s[24:25], 0, s[12:13]
	s_fmamk_f32 s3, s7, 0x4f800000, s3
	s_delay_alu instid0(SALU_CYCLE_3) | instskip(NEXT) | instid1(TRANS32_DEP_1)
	v_s_rcp_f32 s3, s3
	s_mul_f32 s3, s3, 0x5f7ffffc
	s_delay_alu instid0(SALU_CYCLE_3) | instskip(NEXT) | instid1(SALU_CYCLE_3)
	s_mul_f32 s7, s3, 0x2f800000
	s_trunc_f32 s7, s7
	s_delay_alu instid0(SALU_CYCLE_3) | instskip(SKIP_1) | instid1(SALU_CYCLE_2)
	s_fmamk_f32 s3, s7, 0xcf800000, s3
	s_cvt_u32_f32 s23, s7
	s_cvt_u32_f32 s22, s3
	s_delay_alu instid0(SALU_CYCLE_3) | instskip(NEXT) | instid1(SALU_CYCLE_1)
	s_mul_u64 s[26:27], s[24:25], s[22:23]
	s_mul_hi_u32 s29, s22, s27
	s_mul_i32 s28, s22, s27
	s_mul_hi_u32 s10, s22, s26
	s_mul_i32 s7, s23, s26
	s_add_nc_u64 s[28:29], s[10:11], s[28:29]
	s_mul_hi_u32 s3, s23, s26
	s_mul_hi_u32 s14, s23, s27
	s_add_co_u32 s7, s28, s7
	s_add_co_ci_u32 s10, s29, s3
	s_mul_i32 s26, s23, s27
	s_add_co_ci_u32 s27, s14, 0
	s_delay_alu instid0(SALU_CYCLE_1) | instskip(NEXT) | instid1(SALU_CYCLE_1)
	s_add_nc_u64 s[26:27], s[10:11], s[26:27]
	s_add_co_u32 s22, s22, s26
	s_cselect_b32 s3, -1, 0
	s_delay_alu instid0(SALU_CYCLE_1) | instskip(SKIP_1) | instid1(SALU_CYCLE_1)
	s_cmp_lg_u32 s3, 0
	s_add_co_ci_u32 s23, s23, s27
	s_mul_u64 s[24:25], s[24:25], s[22:23]
	s_delay_alu instid0(SALU_CYCLE_1)
	s_mul_hi_u32 s27, s22, s25
	s_mul_i32 s26, s22, s25
	s_mul_hi_u32 s10, s22, s24
	s_mul_i32 s7, s23, s24
	s_add_nc_u64 s[26:27], s[10:11], s[26:27]
	s_mul_hi_u32 s3, s23, s24
	s_mul_hi_u32 s14, s23, s25
	s_add_co_u32 s7, s26, s7
	s_add_co_ci_u32 s10, s27, s3
	s_mul_i32 s24, s23, s25
	s_add_co_ci_u32 s25, s14, 0
	s_delay_alu instid0(SALU_CYCLE_1) | instskip(NEXT) | instid1(SALU_CYCLE_1)
	s_add_nc_u64 s[24:25], s[10:11], s[24:25]
	s_add_co_u32 s3, s22, s24
	s_cselect_b32 s7, -1, 0
	s_delay_alu instid0(SALU_CYCLE_1) | instskip(SKIP_2) | instid1(SALU_CYCLE_1)
	s_cmp_lg_u32 s7, 0
	s_add_co_ci_u32 s7, s23, s25
	s_ashr_i32 s22, s9, 31
	s_mov_b32 s23, s22
	s_delay_alu instid0(SALU_CYCLE_1) | instskip(NEXT) | instid1(SALU_CYCLE_1)
	s_add_nc_u64 s[24:25], s[8:9], s[22:23]
	s_xor_b64 s[24:25], s[24:25], s[22:23]
	s_delay_alu instid0(SALU_CYCLE_1)
	s_mul_hi_u32 s27, s24, s7
	s_mul_i32 s26, s24, s7
	s_mul_hi_u32 s10, s24, s3
	s_mul_hi_u32 s14, s25, s3
	s_mul_i32 s3, s25, s3
	s_add_nc_u64 s[26:27], s[10:11], s[26:27]
	s_mul_hi_u32 s9, s25, s7
	s_add_co_u32 s3, s26, s3
	s_add_co_ci_u32 s10, s27, s14
	s_mul_i32 s28, s25, s7
	s_add_co_ci_u32 s29, s9, 0
	s_delay_alu instid0(SALU_CYCLE_1) | instskip(NEXT) | instid1(SALU_CYCLE_1)
	s_add_nc_u64 s[26:27], s[10:11], s[28:29]
	s_and_b64 s[28:29], s[26:27], 0xffffffff00000000
	s_delay_alu instid0(SALU_CYCLE_1) | instskip(NEXT) | instid1(SALU_CYCLE_1)
	s_or_b32 s28, s28, s26
	s_mul_u64 s[26:27], s[12:13], s[28:29]
	s_add_nc_u64 s[30:31], s[28:29], 1
	s_sub_co_u32 s3, s24, s26
	s_cselect_b32 s7, -1, 0
	s_sub_co_i32 s9, s25, s27
	s_cmp_lg_u32 s7, 0
	s_add_nc_u64 s[34:35], s[28:29], 2
	s_sub_co_ci_u32 s9, s9, s13
	s_sub_co_u32 s10, s3, s12
	s_cselect_b32 s14, -1, 0
	s_delay_alu instid0(SALU_CYCLE_1) | instskip(SKIP_1) | instid1(SALU_CYCLE_1)
	s_cmp_lg_u32 s14, 0
	s_sub_co_ci_u32 s9, s9, 0
	s_cmp_ge_u32 s9, s13
	s_cselect_b32 s14, -1, 0
	s_cmp_ge_u32 s10, s12
	s_cselect_b32 s10, -1, 0
	s_cmp_eq_u32 s9, s13
	s_cselect_b32 s9, s10, s14
	s_delay_alu instid0(SALU_CYCLE_1) | instskip(SKIP_4) | instid1(SALU_CYCLE_1)
	s_cmp_lg_u32 s9, 0
	s_cselect_b32 s9, s34, s30
	s_cselect_b32 s10, s35, s31
	s_cmp_lg_u32 s7, 0
	s_sub_co_ci_u32 s7, s25, s27
	s_cmp_ge_u32 s7, s13
	s_cselect_b32 s14, -1, 0
	s_cmp_ge_u32 s3, s12
	s_cselect_b32 s3, -1, 0
	s_cmp_eq_u32 s7, s13
	s_cselect_b32 s3, s3, s14
	s_delay_alu instid0(SALU_CYCLE_1) | instskip(SKIP_3) | instid1(SALU_CYCLE_1)
	s_cmp_lg_u32 s3, 0
	s_cselect_b32 s13, s10, s29
	s_cselect_b32 s12, s9, s28
	s_xor_b64 s[22:23], s[22:23], 0
	s_xor_b64 s[12:13], s[12:13], s[22:23]
	s_delay_alu instid0(SALU_CYCLE_1)
	s_sub_nc_u64 s[24:25], s[12:13], s[22:23]
	s_load_b96 s[12:14], s[0:1], 0x44
	s_cbranch_execnz .LBB12_6
.LBB12_5:
	v_cvt_f32_u32_e32 v1, s16
	s_sub_co_i32 s7, 0, s16
	s_delay_alu instid0(VALU_DEP_1) | instskip(SKIP_1) | instid1(TRANS32_DEP_1)
	v_rcp_iflag_f32_e32 v1, v1
	v_nop
	v_mul_f32_e32 v1, 0x4f7ffffe, v1
	s_delay_alu instid0(VALU_DEP_1) | instskip(NEXT) | instid1(VALU_DEP_1)
	v_cvt_u32_f32_e32 v1, v1
	v_readfirstlane_b32 s3, v1
	s_mul_i32 s7, s7, s3
	s_delay_alu instid0(SALU_CYCLE_1) | instskip(NEXT) | instid1(SALU_CYCLE_1)
	s_mul_hi_u32 s7, s3, s7
	s_add_co_i32 s3, s3, s7
	s_delay_alu instid0(SALU_CYCLE_1) | instskip(NEXT) | instid1(SALU_CYCLE_1)
	s_mul_hi_u32 s3, s8, s3
	s_mul_i32 s7, s3, s16
	s_delay_alu instid0(SALU_CYCLE_1)
	s_sub_co_i32 s7, s8, s7
	s_add_co_i32 s8, s3, 1
	s_sub_co_i32 s9, s7, s16
	s_cmp_ge_u32 s7, s16
	s_cselect_b32 s3, s8, s3
	s_cselect_b32 s7, s9, s7
	s_add_co_i32 s8, s3, 1
	s_cmp_ge_u32 s7, s16
	s_cselect_b32 s24, s8, s3
.LBB12_6:
	s_delay_alu instid0(SALU_CYCLE_1)
	s_cmp_eq_u32 s20, s24
	s_mov_b64 s[8:9], 0xffffffff
	s_cselect_b32 s3, -1, 0
	s_and_b64 s[8:9], s[20:21], s[8:9]
	s_mov_b32 s23, 0
	s_wait_kmcnt 0x0
	s_mov_b32 s22, s12
	s_mov_b32 s25, s23
	s_mul_u64 s[10:11], s[8:9], s[22:23]
	s_delay_alu instid0(SALU_CYCLE_1) | instskip(SKIP_2) | instid1(SALU_CYCLE_1)
	s_add_co_i32 s7, s11, s20
	s_mul_u64 s[10:11], s[24:25], s[22:23]
	s_lshr_b32 s12, s7, s13
	s_mul_i32 s7, s12, s14
	s_delay_alu instid0(SALU_CYCLE_1) | instskip(SKIP_2) | instid1(SALU_CYCLE_1)
	s_cmp_eq_u32 s7, s20
	s_cselect_b32 s7, -1, 0
	s_add_co_i32 s10, s11, s24
	s_lshr_b32 s10, s10, s13
	s_delay_alu instid0(SALU_CYCLE_1)
	s_cmp_eq_u32 s12, s10
	s_mul_i32 s10, s10, s14
	s_cselect_b32 s11, -1, 0
	s_cmp_lg_u32 s10, s24
	s_cselect_b32 s10, -1, 0
	s_or_b32 s3, s3, s7
	s_and_b32 s10, s11, s10
	s_delay_alu instid0(SALU_CYCLE_1) | instskip(NEXT) | instid1(SALU_CYCLE_1)
	s_or_b32 s3, s3, s10
	s_and_b32 vcc_lo, exec_lo, s3
	s_cbranch_vccnz .LBB12_24
; %bb.7:
	s_load_b256 s[24:31], s[0:1], 0x20
	s_bfe_u32 s7, ttmp6, 0x40014
	s_bfe_u32 s33, ttmp6, 0x40010
	s_lshr_b32 s3, ttmp7, 16
	s_add_co_i32 s7, s7, 1
	s_and_b32 s21, ttmp7, 0xffff
	s_add_co_i32 s33, s33, 1
	s_bfe_u32 s10, ttmp6, 0x40008
	s_mul_i32 s7, s3, s7
	s_bfe_u32 s34, ttmp6, 0x40004
	s_mul_i32 s33, s21, s33
	s_mov_b32 s11, s23
	s_add_co_i32 s35, s10, s7
	s_add_co_i32 s34, s34, s33
	s_cmp_eq_u32 s15, 0
	s_cselect_b32 s7, s21, s34
	s_cselect_b32 s3, s3, s35
	s_wait_kmcnt 0x0
	s_mov_b32 s10, s24
	s_delay_alu instid0(SALU_CYCLE_1) | instskip(NEXT) | instid1(SALU_CYCLE_1)
	s_mul_u64 s[8:9], s[8:9], s[10:11]
	s_add_co_i32 s8, s9, s20
	s_load_b32 s9, s[0:1], 0x40
	s_lshr_b32 s8, s8, s25
	s_delay_alu instid0(SALU_CYCLE_1) | instskip(NEXT) | instid1(SALU_CYCLE_1)
	s_mul_i32 s10, s8, s26
	s_sub_co_i32 s10, s20, s10
	s_delay_alu instid0(SALU_CYCLE_1) | instskip(NEXT) | instid1(SALU_CYCLE_1)
	s_mul_hi_u32 s11, s10, s27
	s_add_co_i32 s11, s10, s11
	s_delay_alu instid0(SALU_CYCLE_1) | instskip(NEXT) | instid1(SALU_CYCLE_1)
	s_lshr_b32 s15, s11, s28
	s_mul_i32 s11, s15, s29
	s_delay_alu instid0(SALU_CYCLE_1) | instskip(NEXT) | instid1(SALU_CYCLE_1)
	s_sub_co_i32 s10, s10, s11
	s_mul_hi_u32 s11, s10, s30
	s_delay_alu instid0(SALU_CYCLE_1) | instskip(NEXT) | instid1(SALU_CYCLE_1)
	s_add_co_i32 s11, s10, s11
	s_lshr_b32 s26, s11, s31
	s_mov_b32 s11, s23
	s_wait_kmcnt 0x0
	s_mul_i32 s9, s26, s9
	s_delay_alu instid0(SALU_CYCLE_1) | instskip(NEXT) | instid1(SALU_CYCLE_1)
	s_sub_co_i32 s10, s10, s9
	s_mul_u64 s[24:25], s[10:11], s[22:23]
	s_lshl_b32 s24, s26, 3
	s_add_co_i32 s9, s10, s25
	s_delay_alu instid0(SALU_CYCLE_1) | instskip(NEXT) | instid1(SALU_CYCLE_1)
	s_lshr_b32 s21, s9, s13
	s_lshl_b32 s9, s21, 2
	s_delay_alu instid0(SALU_CYCLE_1) | instskip(NEXT) | instid1(SALU_CYCLE_1)
	s_add_co_i32 s9, s9, s7
	s_cmp_lt_i32 s9, s4
	s_cselect_b32 s9, -1, 0
	s_add_co_i32 s10, s24, s3
	s_delay_alu instid0(SALU_CYCLE_1) | instskip(SKIP_1) | instid1(SALU_CYCLE_1)
	s_cmp_lt_i32 s10, s6
	s_cselect_b32 s10, -1, 0
	s_and_b32 s9, s9, s10
	s_delay_alu instid0(SALU_CYCLE_1)
	s_and_not1_b32 vcc_lo, exec_lo, s9
	s_cbranch_vccnz .LBB12_24
; %bb.8:
	s_mul_i32 s4, s8, s4
	s_load_b128 s[8:11], s[0:1], 0x0
	s_wait_xcnt 0x0
	s_add_co_i32 s0, s4, s7
	s_mul_i32 s15, s15, s6
	s_mul_i32 s0, s0, s5
	;; [unrolled: 1-line block ×3, first 2 shown]
	s_add_co_i32 s0, s0, s3
	s_lshl_b32 s1, s1, 9
	s_add_co_i32 s0, s0, s15
	s_lshl_b32 s15, s7, 3
	s_add_co_i32 s0, s0, s24
	s_add_co_i32 s15, s15, s3
	s_lshl_b32 s0, s0, 7
	v_lshl_or_b32 v6, s15, 7, v0
	s_add_co_i32 s1, s1, s0
	v_cvt_f32_u32_e32 v4, s16
	v_or_b32_e32 v2, s1, v0
	s_add_nc_u64 s[0:1], s[16:17], 0
	s_lshl_b32 s24, s16, 7
	s_xor_b64 s[6:7], s[0:1], 0
	s_lshl_b32 s0, s2, 5
	s_cvt_f32_u32 s3, s6
	s_add_co_i32 s0, s15, s0
	s_cvt_f32_u32 s4, s7
	s_ashr_i32 s1, s0, 31
	v_rcp_iflag_f32_e32 v4, v4
	s_lshl_b64 s[0:1], s[0:1], 3
	s_fmamk_f32 s3, s4, 0x4f800000, s3
	s_wait_kmcnt 0x0
	s_add_nc_u64 s[0:1], s[10:11], s[0:1]
	s_mov_b32 s25, 0
	s_load_b64 s[28:29], s[0:1], 0x0
	v_s_rcp_f32 s3, s3
	s_wait_xcnt 0x0
	s_lshl_b64 s[0:1], s[24:25], 2
	s_add_co_i32 s36, s2, -1
	s_add_nc_u64 s[26:27], s[10:11], s[0:1]
	s_sub_nc_u64 s[34:35], 0, s[6:7]
	v_mul_f32_e32 v4, 0x4f7ffffe, v4
	s_delay_alu instid0(TRANS32_DEP_1) | instskip(NEXT) | instid1(VALU_DEP_1)
	s_mul_f32 s3, s3, 0x5f7ffffc
	v_cvt_u32_f32_e32 v7, v4
	s_delay_alu instid0(SALU_CYCLE_2) | instskip(NEXT) | instid1(SALU_CYCLE_3)
	s_mul_f32 s4, s3, 0x2f800000
	s_trunc_f32 s4, s4
	s_wait_kmcnt 0x0
	v_mov_b32_e32 v0, s29
	global_load_b32 v1, v2, s[8:9] scale_offset
	v_ashrrev_i32_e32 v3, 31, v2
	s_fmamk_f32 s0, s4, 0xcf800000, s3
	s_cvt_u32_f32 s31, s4
	s_wait_xcnt 0x0
	s_delay_alu instid0(VALU_DEP_1)
	v_lshl_add_u64 v[2:3], v[2:3], 2, s[8:9]
	s_cvt_u32_f32 s30, s0
	s_mov_b64 s[8:9], 0xffffffff
.LBB12_9:                               ; =>This Inner Loop Header: Depth=1
	s_ashr_i32 s37, s36, 31
                                        ; implicit-def: $sgpr40_sgpr41
	s_delay_alu instid0(SALU_CYCLE_1) | instskip(NEXT) | instid1(SALU_CYCLE_1)
	s_mul_u64 s[0:1], s[36:37], s[18:19]
	s_and_b64 s[2:3], s[0:1], 0xffffffff00000000
	s_delay_alu instid0(SALU_CYCLE_1)
	s_cmp_lg_u64 s[2:3], 0
	s_mov_b32 s2, -1
	s_cbranch_scc0 .LBB12_11
; %bb.10:                               ;   in Loop: Header=BB12_9 Depth=1
	s_mul_u64 s[2:3], s[34:35], s[30:31]
	s_delay_alu instid0(SALU_CYCLE_1)
	s_mul_hi_u32 s5, s30, s3
	s_mul_i32 s4, s30, s3
	s_mul_hi_u32 s24, s30, s2
	s_mul_hi_u32 s17, s31, s2
	s_add_nc_u64 s[4:5], s[24:25], s[4:5]
	s_mul_i32 s2, s31, s2
	s_mul_hi_u32 s21, s31, s3
	s_add_co_u32 s2, s4, s2
	s_add_co_ci_u32 s24, s5, s17
	s_add_co_ci_u32 s5, s21, 0
	s_mul_i32 s4, s31, s3
	s_delay_alu instid0(SALU_CYCLE_1) | instskip(NEXT) | instid1(SALU_CYCLE_1)
	s_add_nc_u64 s[2:3], s[24:25], s[4:5]
	s_add_co_u32 s2, s30, s2
	s_cselect_b32 s4, -1, 0
	s_delay_alu instid0(SALU_CYCLE_1) | instskip(SKIP_1) | instid1(SALU_CYCLE_1)
	s_cmp_lg_u32 s4, 0
	s_add_co_ci_u32 s3, s31, s3
	s_mul_u64 s[4:5], s[34:35], s[2:3]
	s_delay_alu instid0(SALU_CYCLE_1)
	s_mul_hi_u32 s39, s2, s5
	s_mul_i32 s38, s2, s5
	s_mul_hi_u32 s24, s2, s4
	s_mul_hi_u32 s17, s3, s4
	s_mul_i32 s4, s3, s4
	s_add_nc_u64 s[38:39], s[24:25], s[38:39]
	s_mul_hi_u32 s21, s3, s5
	s_add_co_u32 s4, s38, s4
	s_add_co_ci_u32 s24, s39, s17
	s_mul_i32 s4, s3, s5
	s_add_co_ci_u32 s5, s21, 0
	s_delay_alu instid0(SALU_CYCLE_1) | instskip(NEXT) | instid1(SALU_CYCLE_1)
	s_add_nc_u64 s[4:5], s[24:25], s[4:5]
	s_add_co_u32 s17, s2, s4
	s_cselect_b32 s2, -1, 0
	s_delay_alu instid0(SALU_CYCLE_1) | instskip(SKIP_2) | instid1(SALU_CYCLE_1)
	s_cmp_lg_u32 s2, 0
	s_add_co_ci_u32 s21, s3, s5
	s_ashr_i32 s2, s1, 31
	s_mov_b32 s3, s2
	s_delay_alu instid0(SALU_CYCLE_1) | instskip(NEXT) | instid1(SALU_CYCLE_1)
	s_add_nc_u64 s[4:5], s[0:1], s[2:3]
	s_xor_b64 s[4:5], s[4:5], s[2:3]
	s_delay_alu instid0(SALU_CYCLE_1)
	s_mul_hi_u32 s39, s4, s21
	s_mul_i32 s38, s4, s21
	s_mul_hi_u32 s24, s4, s17
	s_mul_hi_u32 s29, s5, s17
	s_mul_i32 s17, s5, s17
	s_add_nc_u64 s[38:39], s[24:25], s[38:39]
	s_mul_hi_u32 s1, s5, s21
	s_add_co_u32 s17, s38, s17
	s_add_co_ci_u32 s24, s39, s29
	s_mul_i32 s40, s5, s21
	s_add_co_ci_u32 s41, s1, 0
	s_delay_alu instid0(SALU_CYCLE_1) | instskip(NEXT) | instid1(SALU_CYCLE_1)
	s_add_nc_u64 s[38:39], s[24:25], s[40:41]
	s_and_b64 s[40:41], s[38:39], 0xffffffff00000000
	s_delay_alu instid0(SALU_CYCLE_1) | instskip(NEXT) | instid1(SALU_CYCLE_1)
	s_or_b32 s40, s40, s38
	s_mul_u64 s[38:39], s[6:7], s[40:41]
	s_add_nc_u64 s[42:43], s[40:41], 1
	s_sub_co_u32 s1, s4, s38
	s_cselect_b32 s4, -1, 0
	s_sub_co_i32 s17, s5, s39
	s_cmp_lg_u32 s4, 0
	s_add_nc_u64 s[44:45], s[40:41], 2
	s_sub_co_ci_u32 s17, s17, s7
	s_sub_co_u32 s21, s1, s6
	s_cselect_b32 s24, -1, 0
	s_delay_alu instid0(SALU_CYCLE_1) | instskip(SKIP_1) | instid1(SALU_CYCLE_1)
	s_cmp_lg_u32 s24, 0
	s_sub_co_ci_u32 s17, s17, 0
	s_cmp_ge_u32 s17, s7
	s_cselect_b32 s24, -1, 0
	s_cmp_ge_u32 s21, s6
	s_cselect_b32 s21, -1, 0
	s_cmp_eq_u32 s17, s7
	s_cselect_b32 s17, s21, s24
	s_delay_alu instid0(SALU_CYCLE_1) | instskip(SKIP_4) | instid1(SALU_CYCLE_1)
	s_cmp_lg_u32 s17, 0
	s_cselect_b32 s17, s44, s42
	s_cselect_b32 s21, s45, s43
	s_cmp_lg_u32 s4, 0
	s_sub_co_ci_u32 s4, s5, s39
	s_cmp_ge_u32 s4, s7
	s_cselect_b32 s5, -1, 0
	s_cmp_ge_u32 s1, s6
	s_cselect_b32 s1, -1, 0
	s_cmp_eq_u32 s4, s7
	s_cselect_b32 s1, s1, s5
	s_delay_alu instid0(SALU_CYCLE_1) | instskip(SKIP_3) | instid1(SALU_CYCLE_1)
	s_cmp_lg_u32 s1, 0
	s_cselect_b32 s5, s21, s41
	s_cselect_b32 s4, s17, s40
	s_xor_b64 s[2:3], s[2:3], 0
	s_xor_b64 s[4:5], s[4:5], s[2:3]
	s_delay_alu instid0(SALU_CYCLE_1)
	s_sub_nc_u64 s[40:41], s[4:5], s[2:3]
	s_mov_b32 s2, 0
.LBB12_11:                              ;   in Loop: Header=BB12_9 Depth=1
	s_delay_alu instid0(SALU_CYCLE_1)
	s_and_not1_b32 vcc_lo, exec_lo, s2
	s_cbranch_vccnz .LBB12_13
; %bb.12:                               ;   in Loop: Header=BB12_9 Depth=1
	v_readfirstlane_b32 s1, v7
	s_sub_co_i32 s2, 0, s16
	s_delay_alu instid0(SALU_CYCLE_1) | instskip(NEXT) | instid1(SALU_CYCLE_1)
	s_mul_i32 s2, s2, s1
	s_mul_hi_u32 s2, s1, s2
	s_delay_alu instid0(SALU_CYCLE_1) | instskip(NEXT) | instid1(SALU_CYCLE_1)
	s_add_co_i32 s1, s1, s2
	s_mul_hi_u32 s1, s0, s1
	s_delay_alu instid0(SALU_CYCLE_1) | instskip(NEXT) | instid1(SALU_CYCLE_1)
	s_mul_i32 s2, s1, s16
	s_sub_co_i32 s0, s0, s2
	s_add_co_i32 s2, s1, 1
	s_sub_co_i32 s3, s0, s16
	s_cmp_ge_u32 s0, s16
	s_cselect_b32 s1, s2, s1
	s_cselect_b32 s0, s3, s0
	s_add_co_i32 s2, s1, 1
	s_cmp_ge_u32 s0, s16
	s_cselect_b32 s24, s2, s1
	s_delay_alu instid0(SALU_CYCLE_1)
	s_mov_b64 s[40:41], s[24:25]
.LBB12_13:                              ;   in Loop: Header=BB12_9 Depth=1
	s_delay_alu instid0(SALU_CYCLE_1)
	s_cmp_lg_u32 s20, s40
	s_mov_b32 s0, -1
                                        ; implicit-def: $vgpr4_vgpr5
                                        ; implicit-def: $sgpr24
                                        ; implicit-def: $sgpr17
                                        ; implicit-def: $sgpr21
                                        ; implicit-def: $sgpr29
	s_cbranch_scc0 .LBB12_18
; %bb.14:                               ;   in Loop: Header=BB12_9 Depth=1
	s_add_co_i32 s0, s36, s16
	v_max_num_f32_e64 v4, s28, s28
	s_lshl_b32 s0, s0, 5
	s_mov_b32 s29, s20
	s_add_co_i32 s0, s0, s15
	s_load_b64 s[38:39], s[10:11], s0 offset:0x0 scale_offset
	s_wait_xcnt 0x0
	v_readfirstlane_b32 s0, v4
	s_wait_kmcnt 0x0
	v_max_num_f32_e64 v5, s38, s38
	s_delay_alu instid0(VALU_DEP_1) | instskip(SKIP_1) | instid1(SALU_CYCLE_3)
	v_readfirstlane_b32 s1, v5
	s_max_num_f32 s17, s0, s1
	s_sub_f32 s33, s28, s17
	s_sub_f32 s37, s38, s17
	s_delay_alu instid0(SALU_CYCLE_2)
	s_cmp_nlt_f32 s33, 0xc2ce8ed0
	s_cselect_b32 s1, -1, 0
	s_cmp_ngt_f32 s33, 0x42b17218
	s_cselect_b32 s2, -1, 0
	s_cmp_ge_f32 s33, 0xc1a00000
	s_cselect_b32 s0, -1, 0
	s_cmp_nlt_f32 s37, 0xc2ce8ed0
	s_cselect_b32 s3, -1, 0
	s_cmp_ngt_f32 s37, 0x42b17218
	s_cselect_b32 s4, -1, 0
	s_cmp_ge_f32 s37, 0xc1a00000
	s_cselect_b32 s5, -1, 0
	s_and_b64 s[42:43], s[40:41], s[8:9]
	s_delay_alu instid0(SALU_CYCLE_1) | instskip(NEXT) | instid1(SALU_CYCLE_1)
	s_mul_u64 s[42:43], s[42:43], s[22:23]
	s_add_co_i32 s21, s43, s40
	s_delay_alu instid0(SALU_CYCLE_1) | instskip(NEXT) | instid1(SALU_CYCLE_1)
	s_lshr_b32 s21, s21, s13
	s_mul_i32 s24, s21, s14
	s_delay_alu instid0(SALU_CYCLE_1) | instskip(SKIP_3) | instid1(SALU_CYCLE_1)
	s_cmp_eq_u32 s24, s40
	s_cselect_b32 s24, -1, 0
	s_cmp_lt_u32 s21, s12
	s_cselect_b32 s21, -1, 0
	s_or_b32 s21, s21, s24
	s_mov_b32 s24, -1
	s_and_b32 vcc_lo, exec_lo, s21
	s_mov_b32 s21, s36
	s_cbranch_vccnz .LBB12_16
; %bb.15:                               ;   in Loop: Header=BB12_9 Depth=1
	s_add_co_i32 s21, s36, -1
	s_mov_b32 s24, 0
	s_mov_b32 s29, s40
.LBB12_16:                              ;   in Loop: Header=BB12_9 Depth=1
	v_lshl_add_u32 v4, s36, 12, v6
	s_mul_f32 s40, s33, 0x3fb8aa3b
	s_mul_f32 s38, s37, 0x3fb8aa3b
	s_delay_alu instid0(SALU_CYCLE_2)
	s_xor_b32 s42, s40, 0x80000000
	global_load_b32 v5, v4, s[26:27] scale_offset
	s_fmamk_f32 s42, s33, 0x3fb8aa3b, s42
	s_rndne_f32 s44, s40
	s_xor_b32 s41, s38, 0x80000000
	s_rndne_f32 s43, s38
	s_fmamk_f32 s33, s33, 0x32a5705f, s42
	s_sub_f32 s40, s40, s44
	s_fmamk_f32 s41, s37, 0x3fb8aa3b, s41
	s_sub_f32 s38, s38, s43
	s_delay_alu instid0(SALU_CYCLE_1) | instskip(NEXT) | instid1(SALU_CYCLE_1)
	s_add_f32 s33, s40, s33
	s_fmamk_f32 s37, s37, 0x32a5705f, s41
	s_cvt_i32_f32 s40, s44
	s_delay_alu instid0(SALU_CYCLE_1) | instskip(NEXT) | instid1(SALU_CYCLE_1)
	v_s_exp_f32 s33, s33
	s_add_f32 s37, s38, s37
	s_cvt_i32_f32 s38, s43
	s_delay_alu instid0(SALU_CYCLE_2) | instskip(NEXT) | instid1(TRANS32_DEP_2)
	v_s_exp_f32 s37, s37
	v_ldexp_f32 v8, s33, s40
	s_wait_xcnt 0x0
	s_delay_alu instid0(TRANS32_DEP_1) | instskip(NEXT) | instid1(VALU_DEP_2)
	v_ldexp_f32 v4, s37, s38
	v_cndmask_b32_e64 v8, 0, v8, s1
	s_delay_alu instid0(VALU_DEP_1) | instskip(NEXT) | instid1(VALU_DEP_1)
	v_cndmask_b32_e64 v9, 0x7f800000, v8, s2
	v_dual_cndmask_b32 v4, 0, v4, s3 :: v_dual_cndmask_b32 v10, 0, v9, s0
	s_delay_alu instid0(VALU_DEP_1) | instskip(NEXT) | instid1(VALU_DEP_1)
	v_cndmask_b32_e64 v4, 0x7f800000, v4, s4
	v_dual_cndmask_b32 v8, 0, v4, s5 :: v_dual_mov_b32 v4, s39
	s_wait_loadcnt 0x0
	s_delay_alu instid0(VALU_DEP_1) | instskip(NEXT) | instid1(VALU_DEP_1)
	v_pk_mul_f32 v[4:5], v[4:5], v[8:9] op_sel_hi:[1,0]
	v_pk_fma_f32 v[4:5], v[0:1], v[10:11], v[4:5] op_sel_hi:[1,0,1]
	s_cbranch_execz .LBB12_19
.LBB12_17:                              ;   in Loop: Header=BB12_9 Depth=1
	s_and_not1_b32 vcc_lo, exec_lo, s24
	s_cbranch_vccnz .LBB12_20
	s_branch .LBB12_23
.LBB12_18:                              ;   in Loop: Header=BB12_9 Depth=1
	s_and_not1_b32 vcc_lo, exec_lo, s0
	s_cbranch_vccnz .LBB12_17
.LBB12_19:                              ;   in Loop: Header=BB12_9 Depth=1
	s_wait_loadcnt 0x0
	v_mov_b64_e32 v[4:5], v[0:1]
	s_add_co_i32 s21, s36, -1
	s_mov_b32 s29, s20
	s_mov_b32 s17, s28
	s_cbranch_execz .LBB12_23
.LBB12_20:                              ;   in Loop: Header=BB12_9 Depth=1
	s_wait_loadcnt 0x0
	s_delay_alu instid0(VALU_DEP_1)
	v_mov_b64_e32 v[0:1], v[4:5]
	s_mov_b32 s20, s29
	s_mov_b32 s36, s21
	;; [unrolled: 1-line block ×3, first 2 shown]
	s_branch .LBB12_9
.LBB12_21:
                                        ; implicit-def: $sgpr20_sgpr21
	s_branch .LBB12_2
.LBB12_22:
                                        ; implicit-def: $sgpr24_sgpr25
	s_load_b96 s[12:14], s[0:1], 0x44
	s_branch .LBB12_5
.LBB12_23:
	s_delay_alu instid0(VALU_DEP_1) | instskip(SKIP_1) | instid1(VALU_DEP_1)
	v_div_scale_f32 v0, null, v4, v4, v5
	s_wait_loadcnt 0x0
	v_rcp_f32_e32 v1, v0
	v_nop
	s_delay_alu instid0(TRANS32_DEP_1) | instskip(NEXT) | instid1(VALU_DEP_1)
	v_fma_f32 v6, -v0, v1, 1.0
	v_fmac_f32_e32 v1, v6, v1
	v_div_scale_f32 v6, vcc_lo, v5, v4, v5
	s_delay_alu instid0(VALU_DEP_1) | instskip(NEXT) | instid1(VALU_DEP_1)
	v_mul_f32_e32 v7, v6, v1
	v_fma_f32 v8, -v0, v7, v6
	s_delay_alu instid0(VALU_DEP_1) | instskip(NEXT) | instid1(VALU_DEP_1)
	v_fmac_f32_e32 v7, v8, v1
	v_fma_f32 v0, -v0, v7, v6
	s_delay_alu instid0(VALU_DEP_1) | instskip(NEXT) | instid1(VALU_DEP_1)
	v_div_fmas_f32 v0, v0, v1, v7
	v_div_fixup_f32 v0, v0, v4, v5
	global_store_b32 v[2:3], v0, off
.LBB12_24:
	s_endpgm
	.section	.rodata,"a",@progbits
	.p2align	6, 0x0
	.amdhsa_kernel _ZL33flash_attn_stream_k_fixup_generalILi128ELi4ELi8EEvPfPK15HIP_vector_typeIfLj2EEiiiiS1_IjLj3EES5_S5_S5_
		.amdhsa_group_segment_fixed_size 0
		.amdhsa_private_segment_fixed_size 0
		.amdhsa_kernarg_size 336
		.amdhsa_user_sgpr_count 2
		.amdhsa_user_sgpr_dispatch_ptr 0
		.amdhsa_user_sgpr_queue_ptr 0
		.amdhsa_user_sgpr_kernarg_segment_ptr 1
		.amdhsa_user_sgpr_dispatch_id 0
		.amdhsa_user_sgpr_kernarg_preload_length 0
		.amdhsa_user_sgpr_kernarg_preload_offset 0
		.amdhsa_user_sgpr_private_segment_size 0
		.amdhsa_wavefront_size32 1
		.amdhsa_uses_dynamic_stack 0
		.amdhsa_enable_private_segment 0
		.amdhsa_system_sgpr_workgroup_id_x 1
		.amdhsa_system_sgpr_workgroup_id_y 1
		.amdhsa_system_sgpr_workgroup_id_z 1
		.amdhsa_system_sgpr_workgroup_info 0
		.amdhsa_system_vgpr_workitem_id 0
		.amdhsa_next_free_vgpr 12
		.amdhsa_next_free_sgpr 46
		.amdhsa_named_barrier_count 0
		.amdhsa_reserve_vcc 1
		.amdhsa_float_round_mode_32 0
		.amdhsa_float_round_mode_16_64 0
		.amdhsa_float_denorm_mode_32 3
		.amdhsa_float_denorm_mode_16_64 3
		.amdhsa_fp16_overflow 0
		.amdhsa_memory_ordered 1
		.amdhsa_forward_progress 1
		.amdhsa_inst_pref_size 27
		.amdhsa_round_robin_scheduling 0
		.amdhsa_exception_fp_ieee_invalid_op 0
		.amdhsa_exception_fp_denorm_src 0
		.amdhsa_exception_fp_ieee_div_zero 0
		.amdhsa_exception_fp_ieee_overflow 0
		.amdhsa_exception_fp_ieee_underflow 0
		.amdhsa_exception_fp_ieee_inexact 0
		.amdhsa_exception_int_div_zero 0
	.end_amdhsa_kernel
	.section	.text._ZL33flash_attn_stream_k_fixup_generalILi128ELi4ELi8EEvPfPK15HIP_vector_typeIfLj2EEiiiiS1_IjLj3EES5_S5_S5_,"axG",@progbits,_ZL33flash_attn_stream_k_fixup_generalILi128ELi4ELi8EEvPfPK15HIP_vector_typeIfLj2EEiiiiS1_IjLj3EES5_S5_S5_,comdat
.Lfunc_end12:
	.size	_ZL33flash_attn_stream_k_fixup_generalILi128ELi4ELi8EEvPfPK15HIP_vector_typeIfLj2EEiiiiS1_IjLj3EES5_S5_S5_, .Lfunc_end12-_ZL33flash_attn_stream_k_fixup_generalILi128ELi4ELi8EEvPfPK15HIP_vector_typeIfLj2EEiiiiS1_IjLj3EES5_S5_S5_
                                        ; -- End function
	.set _ZL33flash_attn_stream_k_fixup_generalILi128ELi4ELi8EEvPfPK15HIP_vector_typeIfLj2EEiiiiS1_IjLj3EES5_S5_S5_.num_vgpr, 12
	.set _ZL33flash_attn_stream_k_fixup_generalILi128ELi4ELi8EEvPfPK15HIP_vector_typeIfLj2EEiiiiS1_IjLj3EES5_S5_S5_.num_agpr, 0
	.set _ZL33flash_attn_stream_k_fixup_generalILi128ELi4ELi8EEvPfPK15HIP_vector_typeIfLj2EEiiiiS1_IjLj3EES5_S5_S5_.numbered_sgpr, 46
	.set _ZL33flash_attn_stream_k_fixup_generalILi128ELi4ELi8EEvPfPK15HIP_vector_typeIfLj2EEiiiiS1_IjLj3EES5_S5_S5_.num_named_barrier, 0
	.set _ZL33flash_attn_stream_k_fixup_generalILi128ELi4ELi8EEvPfPK15HIP_vector_typeIfLj2EEiiiiS1_IjLj3EES5_S5_S5_.private_seg_size, 0
	.set _ZL33flash_attn_stream_k_fixup_generalILi128ELi4ELi8EEvPfPK15HIP_vector_typeIfLj2EEiiiiS1_IjLj3EES5_S5_S5_.uses_vcc, 1
	.set _ZL33flash_attn_stream_k_fixup_generalILi128ELi4ELi8EEvPfPK15HIP_vector_typeIfLj2EEiiiiS1_IjLj3EES5_S5_S5_.uses_flat_scratch, 0
	.set _ZL33flash_attn_stream_k_fixup_generalILi128ELi4ELi8EEvPfPK15HIP_vector_typeIfLj2EEiiiiS1_IjLj3EES5_S5_S5_.has_dyn_sized_stack, 0
	.set _ZL33flash_attn_stream_k_fixup_generalILi128ELi4ELi8EEvPfPK15HIP_vector_typeIfLj2EEiiiiS1_IjLj3EES5_S5_S5_.has_recursion, 0
	.set _ZL33flash_attn_stream_k_fixup_generalILi128ELi4ELi8EEvPfPK15HIP_vector_typeIfLj2EEiiiiS1_IjLj3EES5_S5_S5_.has_indirect_call, 0
	.section	.AMDGPU.csdata,"",@progbits
; Kernel info:
; codeLenInByte = 3360
; TotalNumSgprs: 48
; NumVgprs: 12
; ScratchSize: 0
; MemoryBound: 0
; FloatMode: 240
; IeeeMode: 1
; LDSByteSize: 0 bytes/workgroup (compile time only)
; SGPRBlocks: 0
; VGPRBlocks: 0
; NumSGPRsForWavesPerEU: 48
; NumVGPRsForWavesPerEU: 12
; NamedBarCnt: 0
; Occupancy: 16
; WaveLimiterHint : 0
; COMPUTE_PGM_RSRC2:SCRATCH_EN: 0
; COMPUTE_PGM_RSRC2:USER_SGPR: 2
; COMPUTE_PGM_RSRC2:TRAP_HANDLER: 0
; COMPUTE_PGM_RSRC2:TGID_X_EN: 1
; COMPUTE_PGM_RSRC2:TGID_Y_EN: 1
; COMPUTE_PGM_RSRC2:TGID_Z_EN: 1
; COMPUTE_PGM_RSRC2:TIDIG_COMP_CNT: 0
	.section	.text._ZL15flash_attn_tileILi192ELi128ELi2ELi8ELb0EEvPKcS1_S1_S1_S1_PKiPfP15HIP_vector_typeIfLj2EEffffjfiS5_IjLj3EEiiiiiiiiiiiliiliiiiil,"axG",@progbits,_ZL15flash_attn_tileILi192ELi128ELi2ELi8ELb0EEvPKcS1_S1_S1_S1_PKiPfP15HIP_vector_typeIfLj2EEffffjfiS5_IjLj3EEiiiiiiiiiiiliiliiiiil,comdat
	.globl	_ZL15flash_attn_tileILi192ELi128ELi2ELi8ELb0EEvPKcS1_S1_S1_S1_PKiPfP15HIP_vector_typeIfLj2EEffffjfiS5_IjLj3EEiiiiiiiiiiiliiliiiiil ; -- Begin function _ZL15flash_attn_tileILi192ELi128ELi2ELi8ELb0EEvPKcS1_S1_S1_S1_PKiPfP15HIP_vector_typeIfLj2EEffffjfiS5_IjLj3EEiiiiiiiiiiiliiliiiiil
	.p2align	8
	.type	_ZL15flash_attn_tileILi192ELi128ELi2ELi8ELb0EEvPKcS1_S1_S1_S1_PKiPfP15HIP_vector_typeIfLj2EEffffjfiS5_IjLj3EEiiiiiiiiiiiliiliiiiil,@function
_ZL15flash_attn_tileILi192ELi128ELi2ELi8ELb0EEvPKcS1_S1_S1_S1_PKiPfP15HIP_vector_typeIfLj2EEffffjfiS5_IjLj3EEiiiiiiiiiiiliiliiiiil: ; @_ZL15flash_attn_tileILi192ELi128ELi2ELi8ELb0EEvPKcS1_S1_S1_S1_PKiPfP15HIP_vector_typeIfLj2EEffffjfiS5_IjLj3EEiiiiiiiiiiiliiliiiiil
; %bb.0:
	s_clause 0x1
	s_load_b128 s[20:23], s[0:1], 0x5c
	s_load_b64 s[30:31], s[0:1], 0x80
	s_bfe_u32 s5, ttmp6, 0x40014
	s_lshr_b32 s4, ttmp7, 16
	s_add_co_i32 s5, s5, 1
	s_bfe_u32 s6, ttmp6, 0x40008
	s_mul_i32 s5, s4, s5
	s_getreg_b32 s24, hwreg(HW_REG_IB_STS2, 6, 4)
	s_add_co_i32 s6, s6, s5
	s_load_b64 s[36:37], s[0:1], 0xb8
	s_mov_b64 s[34:35], 0
	s_wait_kmcnt 0x0
	s_ashr_i32 s2, s23, 31
	s_delay_alu instid0(SALU_CYCLE_1) | instskip(NEXT) | instid1(SALU_CYCLE_1)
	s_lshr_b32 s2, s2, 29
	s_add_co_i32 s2, s23, s2
	s_delay_alu instid0(SALU_CYCLE_1) | instskip(NEXT) | instid1(SALU_CYCLE_1)
	s_ashr_i32 s2, s2, 3
	s_cvt_f32_u32 s3, s2
	s_sub_co_i32 s7, 0, s2
	s_delay_alu instid0(SALU_CYCLE_2) | instskip(SKIP_1) | instid1(TRANS32_DEP_1)
	v_rcp_iflag_f32_e32 v1, s3
	v_nop
	v_readfirstlane_b32 s3, v1
	s_mul_f32 s3, s3, 0x4f7ffffe
	s_delay_alu instid0(SALU_CYCLE_3) | instskip(NEXT) | instid1(SALU_CYCLE_3)
	s_cvt_u32_f32 s3, s3
	s_mul_i32 s7, s7, s3
	s_delay_alu instid0(SALU_CYCLE_1) | instskip(NEXT) | instid1(SALU_CYCLE_1)
	s_mul_hi_u32 s7, s3, s7
	s_add_co_i32 s3, s3, s7
	s_cmp_eq_u32 s24, 0
	s_cselect_b32 s4, s4, s6
	s_delay_alu instid0(SALU_CYCLE_1) | instskip(NEXT) | instid1(SALU_CYCLE_1)
	s_mul_hi_u32 s3, s4, s3
	s_mul_i32 s5, s3, s2
	s_add_co_i32 s6, s3, 1
	s_sub_co_i32 s5, s4, s5
	s_delay_alu instid0(SALU_CYCLE_1)
	s_sub_co_i32 s7, s5, s2
	s_cmp_ge_u32 s5, s2
	s_cselect_b32 s3, s6, s3
	s_cselect_b32 s5, s7, s5
	s_add_co_i32 s6, s3, 1
	s_cmp_ge_u32 s5, s2
	s_cselect_b32 s28, s6, s3
	s_abs_i32 s2, s31
	s_abs_i32 s7, s23
	s_cvt_f32_u32 s3, s2
	s_sub_co_i32 s5, 0, s2
	s_lshl_b32 s4, s4, 3
	s_mul_i32 s6, s28, s23
	v_rcp_iflag_f32_e32 v1, s3
	s_sub_co_i32 s33, s4, s6
	s_xor_b32 s4, s23, s31
	s_delay_alu instid0(SALU_CYCLE_1) | instskip(SKIP_1) | instid1(TRANS32_DEP_1)
	s_ashr_i32 s25, s4, 31
	v_nop
	v_readfirstlane_b32 s3, v1
	s_mul_f32 s3, s3, 0x4f7ffffe
	s_delay_alu instid0(SALU_CYCLE_3) | instskip(NEXT) | instid1(SALU_CYCLE_3)
	s_cvt_u32_f32 s3, s3
	s_mul_i32 s5, s5, s3
	s_delay_alu instid0(SALU_CYCLE_1) | instskip(NEXT) | instid1(SALU_CYCLE_1)
	s_mul_hi_u32 s5, s3, s5
	s_add_co_i32 s3, s3, s5
	s_delay_alu instid0(SALU_CYCLE_1) | instskip(NEXT) | instid1(SALU_CYCLE_1)
	s_mul_hi_u32 s3, s7, s3
	s_mul_i32 s5, s3, s2
	s_delay_alu instid0(SALU_CYCLE_1)
	s_sub_co_i32 s4, s7, s5
	s_add_co_i32 s5, s3, 1
	s_sub_co_i32 s6, s4, s2
	s_cmp_ge_u32 s4, s2
	s_cselect_b32 s3, s5, s3
	s_cselect_b32 s4, s6, s4
	s_add_co_i32 s5, s3, 1
	s_cmp_ge_u32 s4, s2
	s_cselect_b32 s2, s5, s3
	s_load_b512 s[4:19], s[0:1], 0x0
	s_xor_b32 s2, s2, s25
	s_mov_b32 s3, 0
	s_sub_co_i32 s29, s2, s25
	s_delay_alu instid0(SALU_CYCLE_1) | instskip(NEXT) | instid1(SALU_CYCLE_1)
	s_abs_i32 s31, s29
	s_cvt_f32_u32 s2, s31
	s_delay_alu instid0(SALU_CYCLE_3) | instskip(SKIP_1) | instid1(TRANS32_DEP_1)
	v_rcp_iflag_f32_e32 v1, s2
	v_nop
	v_readfirstlane_b32 s2, v1
	s_wait_kmcnt 0x0
	s_cmp_eq_u64 s[10:11], 0
	s_cbranch_scc1 .LBB13_2
; %bb.1:
	s_abs_i32 s25, s36
	s_abs_i32 s34, s28
	s_cvt_f32_u32 s26, s25
	s_sub_co_i32 s27, 0, s25
	s_delay_alu instid0(SALU_CYCLE_2) | instskip(SKIP_1) | instid1(TRANS32_DEP_1)
	v_rcp_iflag_f32_e32 v1, s26
	v_nop
	v_readfirstlane_b32 s26, v1
	s_mul_f32 s26, s26, 0x4f7ffffe
	s_delay_alu instid0(SALU_CYCLE_3) | instskip(NEXT) | instid1(SALU_CYCLE_3)
	s_cvt_u32_f32 s26, s26
	s_mul_i32 s27, s27, s26
	s_delay_alu instid0(SALU_CYCLE_1) | instskip(NEXT) | instid1(SALU_CYCLE_1)
	s_mul_hi_u32 s27, s26, s27
	s_add_co_i32 s26, s26, s27
	s_delay_alu instid0(SALU_CYCLE_1) | instskip(SKIP_2) | instid1(SALU_CYCLE_1)
	s_mul_hi_u32 s35, s34, s26
	s_load_b64 s[26:27], s[0:1], 0xc8
	s_mul_i32 s35, s35, s25
	s_sub_co_i32 s34, s34, s35
	s_ashr_i32 s35, s28, 31
	s_sub_co_i32 s36, s34, s25
	s_cmp_ge_u32 s34, s25
	s_cselect_b32 s34, s36, s34
	s_delay_alu instid0(SALU_CYCLE_1) | instskip(SKIP_2) | instid1(SALU_CYCLE_1)
	s_sub_co_i32 s36, s34, s25
	s_cmp_ge_u32 s34, s25
	s_cselect_b32 s25, s36, s34
	s_xor_b32 s25, s25, s35
	s_delay_alu instid0(SALU_CYCLE_1) | instskip(NEXT) | instid1(SALU_CYCLE_1)
	s_sub_co_i32 s34, s25, s35
	s_ashr_i32 s35, s34, 31
	s_wait_kmcnt 0x0
	s_mul_u64 s[26:27], s[26:27], s[34:35]
	s_delay_alu instid0(SALU_CYCLE_1)
	s_add_nc_u64 s[34:35], s[10:11], s[26:27]
.LBB13_2:
	s_bfe_u32 s10, ttmp6, 0x4000c
	v_dual_lshrrev_b32 v1, 10, v0 :: v_dual_mov_b32 v3, 0
	s_add_co_i32 s10, s10, 1
	s_and_b32 s11, ttmp6, 15
	s_mul_i32 s10, ttmp9, s10
	s_delay_alu instid0(VALU_DEP_1)
	v_bfe_u32 v1, v1, 2, 8
	s_add_co_i32 s11, s11, s10
	s_cmp_eq_u32 s24, 0
	v_bfe_u32 v10, v0, 10, 10
	s_cselect_b32 s25, ttmp9, s11
	s_load_b96 s[40:42], s[0:1], 0x70
	v_lshl_add_u32 v18, s25, 1, v1
	s_delay_alu instid0(VALU_DEP_2) | instskip(SKIP_1) | instid1(VALU_DEP_3)
	v_dual_mov_b32 v5, v3 :: v_dual_lshlrev_b32 v8, 1, v10
	v_mul_u32_u24_e32 v20, 0x300, v10
	v_mul_hi_u32 v1, s20, v18
	s_delay_alu instid0(VALU_DEP_1) | instskip(SKIP_3) | instid1(VALU_DEP_1)
	v_dual_add_nc_u32 v1, v18, v1 :: v_dual_bitop2_b32 v4, 6, v8 bitop3:0x40
	s_wait_kmcnt 0x0
	s_mul_i32 s20, s33, s41
	s_ashr_i32 s11, s41, 31
	v_lshrrev_b32_e32 v1, s21, v1
	s_mov_b32 s10, s41
	s_ashr_i32 s41, s40, 31
	s_lshr_b64 s[10:11], s[10:11], 2
	s_lshr_b64 s[26:27], s[40:41], 2
	v_mul_lo_u32 v1, v1, s22
	s_ashr_i32 s21, s20, 31
	v_mul_u64_e32 v[12:13], s[10:11], v[4:5]
	v_and_b32_e32 v5, 0x3ff, v0
	s_delay_alu instid0(VALU_DEP_1) | instskip(SKIP_2) | instid1(VALU_DEP_1)
	v_lshlrev_b32_e32 v0, 4, v5
	v_cmp_gt_u32_e32 vcc_lo, 16, v5
	v_dual_mov_b32 v1, v3 :: v_dual_sub_nc_u32 v2, v18, v1
	v_mul_u64_e32 v[6:7], s[26:27], v[2:3]
	s_mul_i32 s26, s28, s42
	s_delay_alu instid0(SALU_CYCLE_1) | instskip(NEXT) | instid1(SALU_CYCLE_1)
	s_ashr_i32 s27, s26, 31
	s_add_nc_u64 s[4:5], s[4:5], s[26:27]
	s_delay_alu instid0(SALU_CYCLE_1)
	s_add_nc_u64 s[4:5], s[4:5], s[20:21]
	s_delay_alu instid0(VALU_DEP_1) | instid1(SALU_CYCLE_1)
	v_lshl_add_u64 v[6:7], v[6:7], 2, s[4:5]
	s_load_b32 s4, s[0:1], 0x40
	s_delay_alu instid0(VALU_DEP_1) | instskip(NEXT) | instid1(VALU_DEP_1)
	v_add_nc_u64_e32 v[0:1], v[6:7], v[0:1]
	v_lshl_add_u64 v[6:7], v[12:13], 2, v[0:1]
	global_load_b128 v[12:15], v[6:7], off
	s_wait_kmcnt 0x0
	s_mov_b32 s5, s4
	s_wait_loadcnt 0x0
	v_fma_mixlo_f16 v9, s4, v12, 0
	v_dual_mov_b32 v12, v15 :: v_dual_lshlrev_b32 v15, 3, v5
	s_delay_alu instid0(VALU_DEP_2) | instskip(NEXT) | instid1(VALU_DEP_2)
	v_and_b32_e32 v9, 0xffff, v9
	v_pk_mul_f32 v[12:13], s[4:5], v[12:13] op_sel_hi:[0,1]
	s_delay_alu instid0(VALU_DEP_1) | instskip(SKIP_2) | instid1(VALU_DEP_3)
	v_cvt_pk_f16_f32 v11, v12, v13
	v_fma_mixlo_f16 v12, s4, v14, 0
	v_mad_u32_u24 v14, 0x300, v10, v15
	v_and_b32_e32 v13, 0xffff0000, v11
	s_delay_alu instid0(VALU_DEP_3) | instskip(NEXT) | instid1(VALU_DEP_2)
	v_and_b32_e32 v12, 0xffff, v12
	v_dual_lshlrev_b32 v11, 16, v11 :: v_dual_bitop2_b32 v9, v13, v9 bitop3:0x54
	s_delay_alu instid0(VALU_DEP_1) | instskip(NEXT) | instid1(VALU_DEP_2)
	v_or3_b32 v13, v11, v12, 0
	v_or3_b32 v12, 0, 0, v9
	ds_store_b64 v14, v[12:13]
	s_and_saveexec_b32 s20, vcc_lo
	s_cbranch_execz .LBB13_4
; %bb.3:
	global_load_b128 v[22:25], v[6:7], off offset:512
	s_wait_xcnt 0x0
	v_mov_b64_e32 v[6:7], s[4:5]
	s_wait_loadcnt 0x0
	v_fma_mixlo_f16 v9, s4, v22, 0
	v_mov_b32_e32 v22, v25
	s_delay_alu instid0(VALU_DEP_2) | instskip(NEXT) | instid1(VALU_DEP_2)
	v_and_b32_e32 v9, 0xffff, v9
	v_pk_mul_f32 v[6:7], v[6:7], v[22:23]
	s_delay_alu instid0(VALU_DEP_1) | instskip(SKIP_1) | instid1(VALU_DEP_2)
	v_cvt_pk_f16_f32 v6, v6, v7
	v_fma_mixlo_f16 v7, s4, v24, 0
	v_and_b32_e32 v11, 0xffff0000, v6
	s_delay_alu instid0(VALU_DEP_2) | instskip(NEXT) | instid1(VALU_DEP_2)
	v_and_b32_e32 v7, 0xffff, v7
	v_dual_lshlrev_b32 v6, 16, v6 :: v_dual_bitop2_b32 v9, v11, v9 bitop3:0x54
	s_delay_alu instid0(VALU_DEP_1) | instskip(NEXT) | instid1(VALU_DEP_2)
	v_or3_b32 v7, v6, v7, 0
	v_or3_b32 v6, 0, 0, v9
	v_add_nc_u32_e32 v9, v15, v20
	ds_store_b64 v9, v[6:7] offset:256
.LBB13_4:
	s_or_b32 exec_lo, exec_lo, s20
	v_bitop3_b32 v6, v8, 7, 1 bitop3:0xc8
	v_mov_b32_e32 v7, v3
	s_delay_alu instid0(VALU_DEP_1) | instskip(NEXT) | instid1(VALU_DEP_1)
	v_mul_u64_e32 v[6:7], s[10:11], v[6:7]
	v_lshl_add_u64 v[0:1], v[6:7], 2, v[0:1]
	v_mov_b64_e32 v[6:7], s[4:5]
	global_load_b128 v[22:25], v[0:1], off
	s_wait_loadcnt 0x0
	v_fma_mixlo_f16 v3, s4, v22, 0
	v_mov_b32_e32 v22, v25
	s_delay_alu instid0(VALU_DEP_2) | instskip(NEXT) | instid1(VALU_DEP_2)
	v_and_b32_e32 v9, 0xffff, v3
	v_pk_mul_f32 v[6:7], v[6:7], v[22:23]
	s_delay_alu instid0(VALU_DEP_1) | instskip(SKIP_2) | instid1(VALU_DEP_3)
	v_cvt_pk_f16_f32 v6, v6, v7
	v_fma_mixlo_f16 v7, s4, v24, 0
	v_or_b32_e32 v3, 1, v8
	v_and_b32_e32 v11, 0xffff0000, v6
	s_delay_alu instid0(VALU_DEP_3) | instskip(NEXT) | instid1(VALU_DEP_2)
	v_and_b32_e32 v7, 0xffff, v7
	v_dual_lshlrev_b32 v6, 16, v6 :: v_dual_bitop2_b32 v9, v11, v9 bitop3:0x54
	s_delay_alu instid0(VALU_DEP_4) | instskip(NEXT) | instid1(VALU_DEP_2)
	v_mad_u32_u24 v11, 0x180, v3, v15
	v_or3_b32 v7, v6, v7, 0
	s_delay_alu instid0(VALU_DEP_3)
	v_or3_b32 v6, 0, 0, v9
	ds_store_b64 v11, v[6:7]
	s_and_saveexec_b32 s10, vcc_lo
	s_cbranch_execz .LBB13_6
; %bb.5:
	global_load_b128 v[22:25], v[0:1], off offset:512
	s_wait_xcnt 0x0
	v_mov_b64_e32 v[0:1], s[4:5]
	v_mul_u32_u24_e32 v3, 0x180, v3
	s_delay_alu instid0(VALU_DEP_1) | instskip(SKIP_3) | instid1(VALU_DEP_2)
	v_add_nc_u32_e32 v3, v15, v3
	s_wait_loadcnt 0x0
	v_fma_mixlo_f16 v6, s4, v22, 0
	v_mov_b32_e32 v22, v25
	v_and_b32_e32 v6, 0xffff, v6
	s_delay_alu instid0(VALU_DEP_2) | instskip(NEXT) | instid1(VALU_DEP_1)
	v_pk_mul_f32 v[0:1], v[0:1], v[22:23]
	v_cvt_pk_f16_f32 v0, v0, v1
	v_fma_mixlo_f16 v1, s4, v24, 0
	s_delay_alu instid0(VALU_DEP_2) | instskip(NEXT) | instid1(VALU_DEP_2)
	v_and_b32_e32 v7, 0xffff0000, v0
	v_and_b32_e32 v1, 0xffff, v1
	s_delay_alu instid0(VALU_DEP_2) | instskip(NEXT) | instid1(VALU_DEP_1)
	v_dual_lshlrev_b32 v0, 16, v0 :: v_dual_bitop2_b32 v6, v7, v6 bitop3:0x54
	v_or3_b32 v1, v0, v1, 0
	s_delay_alu instid0(VALU_DEP_2)
	v_or3_b32 v0, 0, 0, v6
	ds_store_b64 v3, v[0:1] offset:256
.LBB13_6:
	s_or_b32 exec_lo, exec_lo, s10
	s_cmp_eq_u64 s[14:15], 0
	s_wait_dscnt 0x0
	s_barrier_signal -1
	s_barrier_wait -1
	s_cbranch_scc1 .LBB13_8
; %bb.7:
	s_load_b32 s4, s[0:1], 0xd0
	s_wait_kmcnt 0x0
	s_mul_i32 s4, s4, s28
	s_delay_alu instid0(SALU_CYCLE_1)
	s_add_co_i32 s4, s4, s25
	s_load_b32 s30, s[14:15], s4 offset:0x0 scale_offset
.LBB13_8:
	s_wait_xcnt 0x0
	s_bfe_u32 s4, ttmp6, 0x40010
	s_and_b32 s5, ttmp7, 0xffff
	s_add_co_i32 s4, s4, 1
	s_bfe_u32 s10, ttmp6, 0x40004
	s_mul_i32 s4, s5, s4
	v_mbcnt_lo_u32_b32 v21, -1, 0
	s_add_co_i32 s10, s10, s4
	s_cmp_eq_u32 s24, 0
	s_mov_b32 s4, 0
	s_cselect_b32 s5, s5, s10
	s_delay_alu instid0(SALU_CYCLE_1)
	s_lshl_b32 s10, s5, 5
	s_wait_kmcnt 0x0
	s_cmp_lt_i32 s10, s30
	s_cbranch_scc1 .LBB13_11
; %bb.9:
	v_mbcnt_lo_u32_b32 v0, -1, 0
	s_delay_alu instid0(VALU_DEP_1)
	v_dual_mov_b32 v12, 32 :: v_dual_bitop2_b32 v26, 16, v0 bitop3:0x14
	v_xor_b32_e32 v25, 8, v0
	v_xor_b32_e32 v24, 4, v0
	;; [unrolled: 1-line block ×3, first 2 shown]
	v_dual_lshlrev_b32 v19, 2, v5 :: v_dual_bitop2_b32 v22, 1, v0 bitop3:0x14
	s_and_not1_b32 vcc_lo, exec_lo, s4
	s_cbranch_vccz .LBB13_12
; %bb.10:
	v_dual_mov_b32 v15, 0xfeffffff :: v_dual_mov_b32 v36, 0
	v_dual_mov_b32 v7, 0 :: v_dual_mov_b32 v37, 0
	;; [unrolled: 1-line block ×3, first 2 shown]
	s_delay_alu instid0(VALU_DEP_2)
	v_dual_mov_b32 v14, v15 :: v_dual_mov_b32 v6, v7
	s_branch .LBB13_15
.LBB13_11:
                                        ; implicit-def: $vgpr0
                                        ; implicit-def: $vgpr12
                                        ; implicit-def: $vgpr26
                                        ; implicit-def: $vgpr25
                                        ; implicit-def: $vgpr24
                                        ; implicit-def: $vgpr23
                                        ; implicit-def: $vgpr22
	v_lshlrev_b32_e32 v19, 2, v5
.LBB13_12:
	s_clause 0x1
	s_load_b64 s[20:21], s[0:1], 0x8c
	s_load_b128 s[24:27], s[0:1], 0x98
	s_mul_f32 s2, s2, 0x4f7ffffe
	s_sub_co_i32 s4, 0, s31
	s_mov_b32 s15, s3
	v_dual_lshrrev_b32 v0, 3, v5 :: v_dual_lshrrev_b32 v1, 4, v5
	s_cvt_u32_f32 s11, s2
	s_abs_i32 s2, s33
	s_ashr_i32 s36, s33, 31
	s_ashr_i32 s38, s29, 31
	s_mul_i32 s4, s4, s11
	v_lshl_add_u32 v3, v10, 2, v0
	s_mul_hi_u32 s4, s11, s4
	s_ashr_i32 s39, s37, 1
	s_add_co_i32 s14, s11, s4
	s_xor_b32 s4, s36, s38
	s_mul_u64 s[14:15], s[2:3], s[14:15]
	s_ashr_i32 s29, s28, 31
	s_mul_i32 s3, s15, s31
	s_add_co_i32 s11, s15, 1
	s_sub_co_i32 s36, s2, s3
	s_wait_kmcnt 0x0
	s_ashr_i32 s14, s26, 2
	s_ashr_i32 s20, s20, 2
	s_sub_co_i32 s26, s36, s31
	s_cmp_ge_u32 s36, s31
	s_load_b64 s[2:3], s[0:1], 0xa8
	s_cselect_b32 s11, s11, s15
	s_cselect_b32 s15, s26, s36
	v_mul_lo_u32 v0, s20, v3
	s_add_co_i32 s26, s11, 1
	s_cmp_ge_u32 s15, s31
	v_dual_add_nc_u32 v11, v1, v8 :: v_dual_bitop2_b32 v7, 28, v19 bitop3:0x40
	s_cselect_b32 s11, s26, s11
	s_mul_u64 s[24:25], s[24:25], s[28:29]
	s_xor_b32 s11, s11, s4
	s_delay_alu instid0(VALU_DEP_1)
	v_mul_lo_u32 v6, s14, v11
	s_sub_co_i32 s4, s11, s4
	s_add_nc_u64 s[6:7], s[6:7], s[24:25]
	s_mul_i32 s36, s4, s21
	v_dual_ashrrev_i32 v1, 31, v0 :: v_dual_lshlrev_b32 v12, 2, v7
	s_ashr_i32 s37, s36, 31
	v_mul_u32_u24_e32 v3, 0x90, v3
	s_add_nc_u64 s[6:7], s[6:7], s[36:37]
	v_dual_mov_b32 v13, 0 :: v_dual_bitop2_b32 v7, 60, v19 bitop3:0x40
	v_lshl_add_u64 v[0:1], v[0:1], 2, s[6:7]
	s_wait_kmcnt 0x0
	s_mul_u64 s[2:3], s[2:3], s[28:29]
	s_mul_i32 s24, s4, s27
	v_add3_u32 v27, v3, v12, 0x1800
	s_add_nc_u64 s[2:3], s[8:9], s[2:3]
	v_add_nc_u64_e32 v[8:9], v[0:1], v[12:13]
	v_dual_lshlrev_b32 v12, 2, v7 :: v_dual_ashrrev_i32 v7, 31, v6
	s_ashr_i32 s25, s24, 31
	v_mad_u32 v29, v2, s39, v5
	s_add_nc_u64 s[2:3], s[2:3], s[24:25]
	s_delay_alu instid0(VALU_DEP_2) | instskip(SKIP_4) | instid1(VALU_DEP_3)
	v_lshl_or_b32 v3, v11, 8, v12
	v_lshl_add_u64 v[0:1], v[6:7], 2, s[2:3]
	v_lshl_add_u32 v30, v10, 7, 0x2a00
	v_dual_mov_b32 v14, 0xfeffffff :: v_dual_mov_b32 v35, v13
	s_movk_i32 s4, 0x1800
	v_add_nc_u64_e32 v[10:11], v[0:1], v[12:13]
	v_mad_u32_u24 v28, 0x90, v5, s4
	v_dual_mov_b32 v12, 32 :: v_dual_add_nc_u32 v31, 0x1800, v3
	v_dual_add_nc_u32 v32, v30, v19 :: v_dual_bitop2_b32 v26, 16, v21 bitop3:0x14
	v_dual_mov_b32 v36, v13 :: v_dual_bitop2_b32 v25, 8, v21 bitop3:0x14
	v_dual_mov_b32 v37, v13 :: v_dual_bitop2_b32 v24, 4, v21 bitop3:0x14
	v_xor_b32_e32 v23, 2, v21
	v_dual_mov_b32 v6, v13 :: v_dual_bitop2_b32 v22, 1, v21 bitop3:0x14
	v_add_nc_u32_e32 v33, 0x1800, v15
	v_dual_mov_b32 v7, v13 :: v_dual_add_nc_u32 v34, 0x2000, v15
	v_mov_b32_e32 v15, v14
	s_ashr_i32 s21, s20, 31
	s_ashr_i32 s15, s14, 31
	s_add_nc_u64 s[6:7], s[0:1], 0xd0
.LBB13_13:                              ; =>This Inner Loop Header: Depth=1
	v_cmp_gt_i32_e32 vcc_lo, 32, v26
	v_dual_mov_b32 v38, v15 :: v_dual_mov_b32 v39, v14
	v_add_nc_u32_e32 v14, s10, v29
	s_ashr_i32 s11, s10, 31
	v_cndmask_b32_e32 v16, v21, v26, vcc_lo
	v_cmp_gt_i32_e32 vcc_lo, 32, v25
	s_mul_u64 s[8:9], s[10:11], s[20:21]
	v_dual_mov_b32 v41, 0 :: v_dual_mov_b32 v42, 0
	v_lshl_add_u64 v[2:3], s[8:9], 2, v[8:9]
	v_cndmask_b32_e32 v17, v21, v25, vcc_lo
	v_cmp_gt_i32_e32 vcc_lo, 32, v24
	v_dual_max_num_f32 v15, v39, v39 :: v_dual_max_num_f32 v40, v38, v38
	s_mul_u64 s[24:25], s[10:11], s[14:15]
	s_or_b32 s2, s10, 16
	v_cndmask_b32_e32 v43, v21, v24, vcc_lo
	v_cmp_gt_i32_e32 vcc_lo, 32, v23
	v_dual_lshlrev_b32 v56, 2, v16 :: v_dual_lshlrev_b32 v57, 2, v17
	v_lshl_add_u64 v[0:1], s[24:25], 2, v[10:11]
	s_ashr_i32 s3, s2, 31
	v_cndmask_b32_e32 v44, v21, v23, vcc_lo
	v_cmp_gt_i32_e32 vcc_lo, 32, v22
	s_mul_u64 s[2:3], s[2:3], s[14:15]
	s_delay_alu instid0(SALU_CYCLE_1) | instskip(SKIP_1) | instid1(VALU_DEP_1)
	v_lshl_add_u64 v[16:17], s[2:3], 2, v[10:11]
	v_dual_cndmask_b32 v45, v21, v22, vcc_lo :: v_dual_lshlrev_b32 v43, 2, v43
	v_dual_lshlrev_b32 v58, 2, v44 :: v_dual_lshlrev_b32 v59, 2, v45
	global_load_b128 v[44:47], v[2:3], off
	s_wait_loadcnt 0x0
	ds_store_b128 v27, v[44:47]
	s_wait_dscnt 0x0
	s_barrier_signal -1
	s_barrier_wait -1
	ds_load_b128 v[44:47], v28
	ds_load_b128 v[48:51], v20
	ds_load_b128 v[52:55], v20 offset:384
	s_wait_dscnt 0x1
	;;#ASMSTART
	v_dot2_f32_f16 v41, v44, v48, v41
	;;#ASMEND
	;;#ASMSTART
	v_dot2_f32_f16 v41, v45, v49, v41
	;;#ASMEND
	;;#ASMSTART
	v_dot2_f32_f16 v41, v46, v50, v41
	;;#ASMEND
	;;#ASMSTART
	v_dot2_f32_f16 v41, v47, v51, v41
	;;#ASMEND
	s_wait_dscnt 0x0
	;;#ASMSTART
	v_dot2_f32_f16 v42, v44, v52, v42
	;;#ASMEND
	;;#ASMSTART
	v_dot2_f32_f16 v42, v45, v53, v42
	;;#ASMEND
	;;#ASMSTART
	v_dot2_f32_f16 v42, v46, v54, v42
	;;#ASMEND
	;;#ASMSTART
	v_dot2_f32_f16 v42, v47, v55, v42
	;;#ASMEND
	ds_load_b128 v[44:47], v28 offset:16
	ds_load_b128 v[48:51], v20 offset:16
	ds_load_b128 v[52:55], v20 offset:400
	s_wait_dscnt 0x1
	;;#ASMSTART
	v_dot2_f32_f16 v41, v44, v48, v41
	;;#ASMEND
	;;#ASMSTART
	v_dot2_f32_f16 v41, v45, v49, v41
	;;#ASMEND
	;;#ASMSTART
	v_dot2_f32_f16 v41, v46, v50, v41
	;;#ASMEND
	;;#ASMSTART
	v_dot2_f32_f16 v41, v47, v51, v41
	;;#ASMEND
	s_wait_dscnt 0x0
	;;#ASMSTART
	v_dot2_f32_f16 v42, v44, v52, v42
	;;#ASMEND
	;;#ASMSTART
	v_dot2_f32_f16 v42, v45, v53, v42
	;;#ASMEND
	;;#ASMSTART
	v_dot2_f32_f16 v42, v46, v54, v42
	;;#ASMEND
	;;#ASMSTART
	v_dot2_f32_f16 v42, v47, v55, v42
	;;#ASMEND
	ds_load_b128 v[44:47], v28 offset:32
	ds_load_b128 v[48:51], v20 offset:32
	;; [unrolled: 29-line block ×7, first 2 shown]
	ds_load_b128 v[52:55], v20 offset:496
	s_wait_dscnt 0x1
	;;#ASMSTART
	v_dot2_f32_f16 v41, v44, v48, v41
	;;#ASMEND
	;;#ASMSTART
	v_dot2_f32_f16 v41, v45, v49, v41
	;;#ASMEND
	;; [unrolled: 3-line block ×4, first 2 shown]
	s_wait_dscnt 0x0
	;;#ASMSTART
	v_dot2_f32_f16 v42, v44, v52, v42
	;;#ASMEND
	;;#ASMSTART
	v_dot2_f32_f16 v42, v45, v53, v42
	;;#ASMEND
	;; [unrolled: 3-line block ×4, first 2 shown]
	s_barrier_signal -1
	s_barrier_wait -1
	global_load_b128 v[44:47], v[2:3], off offset:128
	s_wait_loadcnt 0x0
	ds_store_b128 v27, v[44:47]
	s_wait_dscnt 0x0
	s_barrier_signal -1
	s_barrier_wait -1
	ds_load_b128 v[44:47], v28
	ds_load_b128 v[48:51], v20 offset:128
	ds_load_b128 v[52:55], v20 offset:512
	s_wait_dscnt 0x1
	;;#ASMSTART
	v_dot2_f32_f16 v41, v44, v48, v41
	;;#ASMEND
	;;#ASMSTART
	v_dot2_f32_f16 v41, v45, v49, v41
	;;#ASMEND
	;;#ASMSTART
	v_dot2_f32_f16 v41, v46, v50, v41
	;;#ASMEND
	;;#ASMSTART
	v_dot2_f32_f16 v41, v47, v51, v41
	;;#ASMEND
	s_wait_dscnt 0x0
	;;#ASMSTART
	v_dot2_f32_f16 v42, v44, v52, v42
	;;#ASMEND
	;;#ASMSTART
	v_dot2_f32_f16 v42, v45, v53, v42
	;;#ASMEND
	;;#ASMSTART
	v_dot2_f32_f16 v42, v46, v54, v42
	;;#ASMEND
	;;#ASMSTART
	v_dot2_f32_f16 v42, v47, v55, v42
	;;#ASMEND
	ds_load_b128 v[44:47], v28 offset:16
	ds_load_b128 v[48:51], v20 offset:144
	ds_load_b128 v[52:55], v20 offset:528
	s_wait_dscnt 0x1
	;;#ASMSTART
	v_dot2_f32_f16 v41, v44, v48, v41
	;;#ASMEND
	;;#ASMSTART
	v_dot2_f32_f16 v41, v45, v49, v41
	;;#ASMEND
	;;#ASMSTART
	v_dot2_f32_f16 v41, v46, v50, v41
	;;#ASMEND
	;;#ASMSTART
	v_dot2_f32_f16 v41, v47, v51, v41
	;;#ASMEND
	s_wait_dscnt 0x0
	;;#ASMSTART
	v_dot2_f32_f16 v42, v44, v52, v42
	;;#ASMEND
	;;#ASMSTART
	v_dot2_f32_f16 v42, v45, v53, v42
	;;#ASMEND
	;;#ASMSTART
	v_dot2_f32_f16 v42, v46, v54, v42
	;;#ASMEND
	;;#ASMSTART
	v_dot2_f32_f16 v42, v47, v55, v42
	;;#ASMEND
	ds_load_b128 v[44:47], v28 offset:32
	;; [unrolled: 29-line block ×7, first 2 shown]
	ds_load_b128 v[48:51], v20 offset:240
	ds_load_b128 v[52:55], v20 offset:624
	s_wait_dscnt 0x1
	;;#ASMSTART
	v_dot2_f32_f16 v41, v44, v48, v41
	;;#ASMEND
	;;#ASMSTART
	v_dot2_f32_f16 v41, v45, v49, v41
	;;#ASMEND
	;; [unrolled: 3-line block ×4, first 2 shown]
	s_wait_dscnt 0x0
	;;#ASMSTART
	v_dot2_f32_f16 v42, v44, v52, v42
	;;#ASMEND
	;;#ASMSTART
	v_dot2_f32_f16 v42, v45, v53, v42
	;;#ASMEND
	;; [unrolled: 3-line block ×4, first 2 shown]
	s_barrier_signal -1
	s_barrier_wait -1
	global_load_b128 v[44:47], v[2:3], off offset:256
	s_wait_loadcnt 0x0
	ds_store_b128 v27, v[44:47]
	s_wait_dscnt 0x0
	s_barrier_signal -1
	s_barrier_wait -1
	ds_load_b128 v[44:47], v28
	ds_load_b128 v[48:51], v20 offset:256
	ds_load_b128 v[52:55], v20 offset:640
	s_wait_dscnt 0x1
	;;#ASMSTART
	v_dot2_f32_f16 v41, v44, v48, v41
	;;#ASMEND
	;;#ASMSTART
	v_dot2_f32_f16 v41, v45, v49, v41
	;;#ASMEND
	;;#ASMSTART
	v_dot2_f32_f16 v41, v46, v50, v41
	;;#ASMEND
	;;#ASMSTART
	v_dot2_f32_f16 v41, v47, v51, v41
	;;#ASMEND
	s_wait_dscnt 0x0
	;;#ASMSTART
	v_dot2_f32_f16 v42, v44, v52, v42
	;;#ASMEND
	;;#ASMSTART
	v_dot2_f32_f16 v42, v45, v53, v42
	;;#ASMEND
	;;#ASMSTART
	v_dot2_f32_f16 v42, v46, v54, v42
	;;#ASMEND
	;;#ASMSTART
	v_dot2_f32_f16 v42, v47, v55, v42
	;;#ASMEND
	ds_load_b128 v[44:47], v28 offset:16
	ds_load_b128 v[48:51], v20 offset:272
	ds_load_b128 v[52:55], v20 offset:656
	s_wait_dscnt 0x1
	;;#ASMSTART
	v_dot2_f32_f16 v41, v44, v48, v41
	;;#ASMEND
	;;#ASMSTART
	v_dot2_f32_f16 v41, v45, v49, v41
	;;#ASMEND
	;;#ASMSTART
	v_dot2_f32_f16 v41, v46, v50, v41
	;;#ASMEND
	;;#ASMSTART
	v_dot2_f32_f16 v41, v47, v51, v41
	;;#ASMEND
	s_wait_dscnt 0x0
	;;#ASMSTART
	v_dot2_f32_f16 v42, v44, v52, v42
	;;#ASMEND
	;;#ASMSTART
	v_dot2_f32_f16 v42, v45, v53, v42
	;;#ASMEND
	;;#ASMSTART
	v_dot2_f32_f16 v42, v46, v54, v42
	;;#ASMEND
	;;#ASMSTART
	v_dot2_f32_f16 v42, v47, v55, v42
	;;#ASMEND
	ds_load_b128 v[44:47], v28 offset:32
	;; [unrolled: 29-line block ×7, first 2 shown]
	ds_load_b128 v[48:51], v20 offset:368
	ds_load_b128 v[52:55], v20 offset:752
	s_wait_dscnt 0x1
	;;#ASMSTART
	v_dot2_f32_f16 v41, v44, v48, v41
	;;#ASMEND
	;;#ASMSTART
	v_dot2_f32_f16 v41, v45, v49, v41
	;;#ASMEND
	;; [unrolled: 3-line block ×4, first 2 shown]
	s_wait_dscnt 0x0
	;;#ASMSTART
	v_dot2_f32_f16 v42, v44, v52, v42
	;;#ASMEND
	;;#ASMSTART
	v_dot2_f32_f16 v42, v45, v53, v42
	;;#ASMEND
	;; [unrolled: 3-line block ×4, first 2 shown]
	global_load_u16 v14, v14, s[34:35] scale_offset
	s_wait_loadcnt 0x0
	s_barrier_signal -1
	s_barrier_wait -1
	global_load_b128 v[0:3], v[0:1], off
	s_wait_xcnt 0x1
	v_cvt_f32_f16_e32 v14, v14
	s_delay_alu instid0(VALU_DEP_1) | instskip(NEXT) | instid1(VALU_DEP_1)
	v_dual_add_f32 v41, v41, v14 :: v_dual_add_f32 v42, v42, v14
	v_add_f32_e32 v14, 0x40051340, v41
	s_delay_alu instid0(VALU_DEP_1) | instskip(NEXT) | instid1(VALU_DEP_3)
	v_max_num_f32_e32 v14, v15, v14
	v_add_f32_e32 v44, 0x40051340, v42
	s_delay_alu instid0(VALU_DEP_1) | instskip(SKIP_4) | instid1(VALU_DEP_1)
	v_max_num_f32_e32 v15, v40, v44
	ds_bpermute_b32 v40, v56, v14
	ds_bpermute_b32 v44, v56, v15
	s_wait_dscnt 0x0
	v_max_num_f32_e32 v44, v44, v44
	v_max_num_f32_e32 v15, v15, v44
	ds_bpermute_b32 v44, v57, v15
	s_wait_dscnt 0x0
	v_max_num_f32_e32 v44, v44, v44
	s_delay_alu instid0(VALU_DEP_1) | instskip(SKIP_1) | instid1(VALU_DEP_1)
	v_max_num_f32_e32 v15, v15, v44
	v_max_num_f32_e32 v40, v40, v40
	;; [unrolled: 1-line block ×3, first 2 shown]
	ds_bpermute_b32 v40, v57, v14
	s_wait_dscnt 0x0
	v_max_num_f32_e32 v40, v40, v40
	s_delay_alu instid0(VALU_DEP_1) | instskip(SKIP_3) | instid1(VALU_DEP_1)
	v_max_num_f32_e32 v14, v14, v40
	ds_bpermute_b32 v40, v43, v14
	s_wait_dscnt 0x0
	v_max_num_f32_e32 v40, v40, v40
	v_max_num_f32_e32 v14, v14, v40
	ds_bpermute_b32 v40, v58, v14
	s_wait_dscnt 0x0
	v_max_num_f32_e32 v40, v40, v40
	s_delay_alu instid0(VALU_DEP_1) | instskip(SKIP_3) | instid1(VALU_DEP_1)
	v_max_num_f32_e32 v14, v14, v40
	ds_bpermute_b32 v40, v59, v14
	s_wait_dscnt 0x0
	v_max_num_f32_e32 v40, v40, v40
	v_max_num_f32_e32 v14, v14, v40
	s_delay_alu instid0(VALU_DEP_1) | instskip(SKIP_4) | instid1(VALU_DEP_1)
	v_sub_f32_e32 v40, v41, v14
	ds_bpermute_b32 v43, v43, v15
	v_cmp_ngt_f32_e32 vcc_lo, 0xc2ce8ed0, v40
	s_wait_dscnt 0x0
	v_max_num_f32_e32 v43, v43, v43
	v_max_num_f32_e32 v15, v15, v43
	ds_bpermute_b32 v43, v58, v15
	s_wait_dscnt 0x0
	v_max_num_f32_e32 v43, v43, v43
	s_delay_alu instid0(VALU_DEP_1) | instskip(SKIP_3) | instid1(VALU_DEP_1)
	v_max_num_f32_e32 v15, v15, v43
	ds_bpermute_b32 v43, v59, v15
	s_wait_dscnt 0x0
	v_max_num_f32_e32 v43, v43, v43
	v_max_num_f32_e32 v15, v15, v43
	v_sub_f32_e32 v39, v39, v14
	s_delay_alu instid0(VALU_DEP_2) | instskip(SKIP_1) | instid1(VALU_DEP_3)
	v_dual_mul_f32 v43, 0x3fb8aa3b, v40 :: v_dual_sub_f32 v38, v38, v15
	v_sub_f32_e32 v41, v42, v15
	v_mul_f32_e32 v42, 0x3fb8aa3b, v39
	s_delay_alu instid0(VALU_DEP_3)
	v_fma_f32 v48, 0x3fb8aa3b, v40, -v43
	v_rndne_f32_e32 v49, v43
	v_mul_f32_e32 v44, 0x3fb8aa3b, v38
	v_cmp_ngt_f32_e64 s4, 0xc2ce8ed0, v39
	v_fma_f32 v46, 0x3fb8aa3b, v39, -v42
	v_rndne_f32_e32 v47, v42
	v_mul_f32_e32 v45, 0x3fb8aa3b, v41
	v_fma_f32 v50, 0x3fb8aa3b, v38, -v44
	v_rndne_f32_e32 v51, v44
	v_dual_fmac_f32 v46, 0x32a5705f, v39 :: v_dual_sub_f32 v43, v43, v49
	v_sub_f32_e32 v42, v42, v47
	v_rndne_f32_e32 v53, v45
	v_fmac_f32_e32 v48, 0x32a5705f, v40
	v_fma_f32 v52, 0x3fb8aa3b, v41, -v45
	s_delay_alu instid0(VALU_DEP_4) | instskip(NEXT) | instid1(VALU_DEP_4)
	v_dual_sub_f32 v44, v44, v51 :: v_dual_add_f32 v42, v42, v46
	v_dual_sub_f32 v45, v45, v53 :: v_dual_fmac_f32 v50, 0x32a5705f, v38
	s_delay_alu instid0(VALU_DEP_4) | instskip(SKIP_1) | instid1(VALU_DEP_4)
	v_add_f32_e32 v43, v43, v48
	v_cvt_i32_f32_e32 v47, v47
	v_exp_f32_e32 v42, v42
	v_cvt_i32_f32_e32 v49, v49
	v_cmp_ngt_f32_e64 s3, 0xc2ce8ed0, v41
	v_exp_f32_e32 v43, v43
	v_cvt_i32_f32_e32 v51, v51
	v_cvt_i32_f32_e32 v53, v53
	v_cmp_ngt_f32_e64 s2, 0xc2ce8ed0, v38
	v_ldexp_f32 v42, v42, v47
	s_delay_alu instid0(TRANS32_DEP_1) | instskip(SKIP_1) | instid1(VALU_DEP_3)
	v_ldexp_f32 v43, v43, v49
	v_fmac_f32_e32 v52, 0x32a5705f, v41
	v_cndmask_b32_e64 v42, 0, v42, s4
	v_cmp_nlt_f32_e64 s4, 0x42b17218, v39
	s_delay_alu instid0(VALU_DEP_4) | instskip(NEXT) | instid1(VALU_DEP_4)
	v_dual_cndmask_b32 v39, 0, v43 :: v_dual_add_f32 v44, v44, v50
	v_add_f32_e32 v45, v45, v52
	v_cmp_nlt_f32_e32 vcc_lo, 0x42b17218, v38
	s_delay_alu instid0(VALU_DEP_3) | instskip(NEXT) | instid1(VALU_DEP_2)
	v_exp_f32_e32 v44, v44
	v_exp_f32_e32 v45, v45
	s_delay_alu instid0(TRANS32_DEP_2) | instskip(NEXT) | instid1(TRANS32_DEP_1)
	v_ldexp_f32 v44, v44, v51
	v_ldexp_f32 v45, v45, v53
	s_delay_alu instid0(VALU_DEP_1) | instskip(SKIP_3) | instid1(VALU_DEP_4)
	v_dual_cndmask_b32 v44, 0, v44, s2 :: v_dual_cndmask_b32 v43, 0, v45, s3
	v_cmp_nlt_f32_e64 s2, 0x42b17218, v41
	v_cmp_nlt_f32_e64 s3, 0x42b17218, v40
	v_cndmask_b32_e64 v40, 0x7f800000, v42, s4
	v_cndmask_b32_e32 v41, 0x7f800000, v44, vcc_lo
	s_delay_alu instid0(VALU_DEP_3) | instskip(SKIP_1) | instid1(VALU_DEP_4)
	v_cndmask_b32_e64 v38, 0x7f800000, v39, s3
	v_cndmask_b32_e64 v39, 0x7f800000, v43, s2
	v_cvt_f16_f32_e32 v43, v40
	s_delay_alu instid0(VALU_DEP_4) | instskip(NEXT) | instid1(VALU_DEP_3)
	v_cvt_f16_f32_e32 v44, v41
	v_cvt_pk_f16_f32 v42, v38, v39
	v_pk_fma_f32 v[6:7], v[6:7], v[40:41], v[38:39]
	ds_store_b32 v32, v42
	s_wait_loadcnt 0x0
	ds_store_b128 v31, v[0:3]
	s_wait_dscnt 0x0
	s_barrier_signal -1
	s_barrier_wait -1
	ds_load_b128 v[38:41], v30
	v_and_b32_e32 v58, 0xffff, v43
	v_and_b32_e32 v59, 0xffff, v44
	ds_load_2addr_b64 v[42:45], v33 offset1:32
	ds_load_b128 v[46:49], v30 offset:16
	ds_load_2addr_b64 v[50:53], v33 offset0:64 offset1:96
	ds_load_b128 v[54:57], v30 offset:32
	ds_load_b128 v[0:3], v30 offset:48
	v_mul_u32_u24_e32 v62, 0x10001, v58
	v_mul_u32_u24_e32 v59, 0x10001, v59
	s_delay_alu instid0(VALU_DEP_2) | instskip(NEXT) | instid1(VALU_DEP_2)
	v_pk_mul_f16 v36, v36, v62
	v_pk_mul_f16 v13, v13, v59
	s_wait_dscnt 0x5
	v_and_b32_e32 v58, 0xffff, v38
	v_lshrrev_b32_e32 v38, 16, v38
	s_wait_dscnt 0x3
	v_and_b32_e32 v65, 0xffff, v49
	s_wait_dscnt 0x0
	v_lshrrev_b32_e32 v66, 16, v3
	v_and_b32_e32 v67, 0xffff, v3
	v_mul_u32_u24_e32 v63, 0x10001, v58
	v_mul_u32_u24_e32 v38, 0x10001, v38
	s_delay_alu instid0(VALU_DEP_2) | instskip(NEXT) | instid1(VALU_DEP_2)
	v_pk_mul_f16 v58, v42, v63
	v_pk_mul_f16 v42, v42, v38
	v_pk_fma_f16 v36, v43, v63, v36
	v_pk_fma_f16 v13, v43, v38, v13
	v_and_b32_e32 v63, 0xffff, v41
	v_pk_fma_f16 v37, v37, v62, v58
	v_pk_fma_f16 v35, v35, v59, v42
	v_and_b32_e32 v42, 0xffff, v39
	v_lshrrev_b32_e32 v39, 16, v39
	ds_load_2addr_b64 v[58:61], v33 offset0:128 offset1:160
	v_lshrrev_b32_e32 v62, 16, v41
	v_mul_u32_u24_e32 v42, 0x10001, v42
	v_mul_u32_u24_e32 v39, 0x10001, v39
	s_delay_alu instid0(VALU_DEP_2) | instskip(NEXT) | instid1(VALU_DEP_2)
	v_pk_fma_f16 v43, v45, v42, v36
	v_pk_fma_f16 v13, v45, v39, v13
	;; [unrolled: 1-line block ×4, first 2 shown]
	v_and_b32_e32 v44, 0xffff, v40
	v_lshrrev_b32_e32 v45, 16, v40
	ds_load_2addr_b64 v[36:39], v33 offset0:192 offset1:224
	v_mul_u32_u24_e32 v40, 0x10001, v44
	v_mul_u32_u24_e32 v45, 0x10001, v45
	s_delay_alu instid0(VALU_DEP_2) | instskip(SKIP_1) | instid1(VALU_DEP_3)
	v_pk_fma_f16 v44, v51, v40, v43
	v_pk_fma_f16 v64, v50, v40, v42
	;; [unrolled: 1-line block ×4, first 2 shown]
	v_and_b32_e32 v45, 0xffff, v46
	v_mul_u32_u24_e32 v50, 0x10001, v63
	v_lshrrev_b32_e32 v51, 16, v46
	v_mul_u32_u24_e32 v46, 0x10001, v62
	v_and_b32_e32 v62, 0xffff, v48
	v_mul_u32_u24_e32 v45, 0x10001, v45
	v_pk_fma_f16 v44, v53, v50, v44
	v_pk_fma_f16 v50, v52, v50, v64
	;; [unrolled: 1-line block ×4, first 2 shown]
	v_and_b32_e32 v52, 0xffff, v47
	v_lshrrev_b32_e32 v64, 16, v49
	s_wait_dscnt 0x1
	v_pk_fma_f16 v49, v58, v45, v50
	v_mul_u32_u24_e32 v50, 0x10001, v51
	v_dual_lshrrev_b32 v53, 16, v47 :: v_dual_lshrrev_b32 v63, 16, v48
	v_pk_fma_f16 v48, v59, v45, v44
	ds_load_2addr_b64 v[40:43], v34 offset1:32
	v_pk_fma_f16 v13, v59, v50, v13
	v_pk_fma_f16 v35, v58, v50, v35
	v_mul_u32_u24_e32 v50, 0x10001, v52
	v_and_b32_e32 v52, 0xffff, v54
	v_lshrrev_b32_e32 v58, 16, v54
	v_and_b32_e32 v54, 0xffff, v55
	ds_load_2addr_b64 v[44:47], v34 offset0:64 offset1:96
	v_pk_fma_f16 v48, v61, v50, v48
	v_pk_fma_f16 v49, v60, v50, v49
	v_mul_u32_u24_e32 v50, 0x10001, v53
	v_dual_lshrrev_b32 v53, 16, v55 :: v_dual_lshrrev_b32 v55, 16, v56
	v_lshrrev_b32_e32 v59, 16, v57
	v_and_b32_e32 v56, 0xffff, v56
	s_delay_alu instid0(VALU_DEP_4)
	v_pk_fma_f16 v13, v61, v50, v13
	v_pk_fma_f16 v35, v60, v50, v35
	v_mul_u32_u24_e32 v50, 0x10001, v62
	v_mul_u32_u24_e32 v62, 0x10001, v63
	v_and_b32_e32 v63, 0xffff, v1
	v_and_b32_e32 v57, 0xffff, v57
	s_wait_dscnt 0x2
	v_pk_fma_f16 v60, v37, v50, v48
	v_pk_fma_f16 v61, v36, v50, v49
	;; [unrolled: 1-line block ×3, first 2 shown]
	v_mul_u32_u24_e32 v36, 0x10001, v65
	v_pk_fma_f16 v13, v37, v62, v13
	v_lshrrev_b32_e32 v62, 16, v0
	ds_load_2addr_b64 v[48:51], v34 offset0:128 offset1:160
	v_and_b32_e32 v65, 0xffff, v2
	v_pk_fma_f16 v37, v39, v36, v60
	v_and_b32_e32 v60, 0xffff, v0
	v_mul_u32_u24_e32 v0, 0x10001, v64
	v_pk_fma_f16 v36, v38, v36, v61
	v_dual_lshrrev_b32 v61, 16, v1 :: v_dual_lshrrev_b32 v64, 16, v2
	s_delay_alu instid0(VALU_DEP_3)
	v_pk_fma_f16 v13, v39, v0, v13
	v_pk_fma_f16 v35, v38, v0, v35
	v_mul_u32_u24_e32 v0, 0x10001, v52
	v_mul_u32_u24_e32 v38, 0x10001, v58
	v_mul_u32_u24_e32 v39, 0x10001, v54
	v_mul_u32_u24_e32 v52, 0x10001, v55
	v_mul_u32_u24_e32 v54, 0x10001, v59
	s_wait_dscnt 0x2
	v_pk_fma_f16 v37, v41, v0, v37
	v_pk_fma_f16 v36, v40, v0, v36
	ds_load_2addr_b64 v[0:3], v34 offset0:192 offset1:224
	s_wait_dscnt 0x0
	s_barrier_signal -1
	s_barrier_wait -1
	v_pk_fma_f16 v13, v41, v38, v13
	v_pk_fma_f16 v35, v40, v38, v35
	v_pk_fma_f16 v40, v43, v39, v37
	v_pk_fma_f16 v41, v42, v39, v36
	global_load_b128 v[36:39], v[16:17], off
	s_wait_xcnt 0x0
	v_mul_u32_u24_e32 v16, 0x10001, v53
	v_mul_u32_u24_e32 v17, 0x10001, v56
	;; [unrolled: 1-line block ×5, first 2 shown]
	v_pk_fma_f16 v13, v43, v16, v13
	v_pk_fma_f16 v16, v42, v16, v35
	v_pk_fma_f16 v35, v45, v17, v40
	v_pk_fma_f16 v17, v44, v17, v41
	v_mul_u32_u24_e32 v57, 0x10001, v63
	v_pk_fma_f16 v13, v45, v52, v13
	v_pk_fma_f16 v16, v44, v52, v16
	v_pk_fma_f16 v35, v47, v53, v35
	v_pk_fma_f16 v17, v46, v53, v17
	v_mul_u32_u24_e32 v58, 0x10001, v61
	;; [unrolled: 5-line block ×3, first 2 shown]
	v_pk_fma_f16 v13, v49, v56, v13
	v_pk_fma_f16 v16, v48, v56, v16
	v_mul_u32_u24_e32 v60, 0x10001, v64
	v_pk_fma_f16 v35, v51, v57, v35
	v_pk_fma_f16 v17, v50, v57, v17
	;; [unrolled: 1-line block ×4, first 2 shown]
	v_mul_u32_u24_e32 v61, 0x10001, v67
	v_mul_u32_u24_e32 v62, 0x10001, v66
	v_pk_fma_f16 v35, v1, v59, v35
	v_pk_fma_f16 v1, v1, v60, v13
	;; [unrolled: 1-line block ×4, first 2 shown]
	s_delay_alu instid0(VALU_DEP_4) | instskip(NEXT) | instid1(VALU_DEP_4)
	v_pk_fma_f16 v16, v3, v61, v35
	v_pk_fma_f16 v17, v3, v62, v1
	s_delay_alu instid0(VALU_DEP_4) | instskip(NEXT) | instid1(VALU_DEP_4)
	v_pk_fma_f16 v13, v2, v61, v13
	v_pk_fma_f16 v35, v2, v62, v0
	s_wait_loadcnt 0x0
	ds_store_b128 v31, v[36:39]
	s_wait_dscnt 0x0
	s_barrier_signal -1
	s_barrier_wait -1
	ds_load_b128 v[36:39], v30 offset:64
	ds_load_b128 v[40:43], v30 offset:80
	;; [unrolled: 1-line block ×4, first 2 shown]
	s_wait_dscnt 0x3
	v_dual_lshrrev_b32 v48, 16, v36 :: v_dual_lshrrev_b32 v49, 16, v37
	s_wait_dscnt 0x1
	v_dual_lshrrev_b32 v58, 16, v0 :: v_dual_lshrrev_b32 v60, 16, v1
	v_and_b32_e32 v59, 0xffff, v0
	v_and_b32_e32 v61, 0xffff, v1
	v_dual_lshrrev_b32 v62, 16, v2 :: v_dual_lshrrev_b32 v64, 16, v3
	v_and_b32_e32 v63, 0xffff, v2
	v_and_b32_e32 v65, 0xffff, v3
	ds_load_2addr_b64 v[0:3], v33 offset1:32
	v_and_b32_e32 v36, 0xffff, v36
	v_and_b32_e32 v37, 0xffff, v37
	v_dual_lshrrev_b32 v50, 16, v38 :: v_dual_lshrrev_b32 v51, 16, v39
	v_and_b32_e32 v38, 0xffff, v38
	s_delay_alu instid0(VALU_DEP_4)
	v_mul_u32_u24_e32 v36, 0x10001, v36
	v_and_b32_e32 v39, 0xffff, v39
	v_dual_lshrrev_b32 v52, 16, v40 :: v_dual_lshrrev_b32 v53, 16, v41
	v_and_b32_e32 v40, 0xffff, v40
	v_and_b32_e32 v41, 0xffff, v41
	v_dual_lshrrev_b32 v54, 16, v42 :: v_dual_lshrrev_b32 v56, 16, v43
	v_and_b32_e32 v55, 0xffff, v42
	s_delay_alu instid0(VALU_DEP_4)
	v_mul_u32_u24_e32 v40, 0x10001, v40
	v_mul_u32_u24_e32 v42, 0x10001, v52
	v_mul_u32_u24_e32 v41, 0x10001, v41
	v_and_b32_e32 v57, 0xffff, v43
	s_wait_dscnt 0x1
	v_dual_lshrrev_b32 v66, 16, v44 :: v_dual_lshrrev_b32 v68, 16, v45
	s_wait_dscnt 0x0
	v_pk_fma_f16 v13, v0, v36, v13
	v_pk_fma_f16 v16, v1, v36, v16
	v_mul_u32_u24_e32 v36, 0x10001, v48
	v_and_b32_e32 v67, 0xffff, v44
	v_and_b32_e32 v69, 0xffff, v45
	v_mul_u32_u24_e32 v44, 0x10001, v55
	v_mul_u32_u24_e32 v45, 0x10001, v54
	v_pk_fma_f16 v1, v1, v36, v17
	v_mul_u32_u24_e32 v17, 0x10001, v37
	v_pk_fma_f16 v0, v0, v36, v35
	v_mul_u32_u24_e32 v36, 0x10001, v38
	v_mul_u32_u24_e32 v37, 0x10001, v50
	;; [unrolled: 1-line block ×3, first 2 shown]
	v_pk_fma_f16 v13, v2, v17, v13
	v_pk_fma_f16 v16, v3, v17, v16
	v_mul_u32_u24_e32 v17, 0x10001, v49
	v_dual_lshrrev_b32 v70, 16, v46 :: v_dual_lshrrev_b32 v72, 16, v47
	v_and_b32_e32 v71, 0xffff, v46
	v_mul_u32_u24_e32 v46, 0x10001, v57
	s_delay_alu instid0(VALU_DEP_4)
	v_pk_fma_f16 v35, v2, v17, v0
	v_pk_fma_f16 v17, v3, v17, v1
	ds_load_2addr_b64 v[0:3], v33 offset0:64 offset1:96
	v_mul_u32_u24_e32 v48, 0x10001, v59
	v_mul_u32_u24_e32 v49, 0x10001, v58
	v_and_b32_e32 v73, 0xffff, v47
	v_mul_u32_u24_e32 v50, 0x10001, v61
	v_mul_u32_u24_e32 v52, 0x10001, v63
	;; [unrolled: 1-line block ×5, first 2 shown]
	s_wait_dscnt 0x0
	v_pk_fma_f16 v13, v0, v36, v13
	v_pk_fma_f16 v16, v1, v36, v16
	;; [unrolled: 1-line block ×4, first 2 shown]
	v_mul_u32_u24_e32 v17, 0x10001, v51
	v_pk_fma_f16 v13, v2, v38, v13
	v_pk_fma_f16 v16, v3, v38, v16
	ds_load_2addr_b64 v[36:39], v33 offset0:128 offset1:160
	v_mul_u32_u24_e32 v51, 0x10001, v60
	v_pk_fma_f16 v35, v2, v17, v0
	v_pk_fma_f16 v17, v3, v17, v1
	ds_load_2addr_b64 v[0:3], v33 offset0:192 offset1:224
	s_wait_dscnt 0x1
	v_pk_fma_f16 v13, v36, v40, v13
	v_pk_fma_f16 v16, v37, v40, v16
	;; [unrolled: 1-line block ×4, first 2 shown]
	v_mul_u32_u24_e32 v36, 0x10001, v53
	v_pk_fma_f16 v13, v38, v41, v13
	v_pk_fma_f16 v16, v39, v41, v16
	ds_load_2addr_b64 v[40:43], v34 offset1:32
	v_mul_u32_u24_e32 v53, 0x10001, v62
	v_pk_fma_f16 v35, v38, v36, v35
	v_pk_fma_f16 v17, v39, v36, v17
	ds_load_2addr_b64 v[36:39], v34 offset0:64 offset1:96
	s_wait_dscnt 0x2
	v_pk_fma_f16 v13, v0, v44, v13
	v_pk_fma_f16 v16, v1, v44, v16
	v_pk_fma_f16 v0, v0, v45, v35
	v_pk_fma_f16 v1, v1, v45, v17
	v_mul_u32_u24_e32 v17, 0x10001, v56
	v_pk_fma_f16 v13, v2, v46, v13
	v_pk_fma_f16 v16, v3, v46, v16
	ds_load_2addr_b64 v[44:47], v34 offset0:128 offset1:160
	v_mul_u32_u24_e32 v56, 0x10001, v67
	v_pk_fma_f16 v35, v2, v17, v0
	v_pk_fma_f16 v17, v3, v17, v1
	ds_load_2addr_b64 v[0:3], v34 offset0:192 offset1:224
	s_wait_dscnt 0x0
	s_barrier_signal -1
	s_barrier_wait -1
	v_pk_fma_f16 v13, v40, v48, v13
	v_pk_fma_f16 v35, v40, v49, v35
	v_pk_fma_f16 v16, v41, v48, v16
	v_pk_fma_f16 v17, v41, v49, v17
	s_delay_alu instid0(VALU_DEP_4) | instskip(NEXT) | instid1(VALU_DEP_4)
	v_pk_fma_f16 v13, v42, v50, v13
	v_pk_fma_f16 v35, v42, v51, v35
	s_delay_alu instid0(VALU_DEP_4) | instskip(NEXT) | instid1(VALU_DEP_4)
	v_pk_fma_f16 v16, v43, v50, v16
	v_pk_fma_f16 v17, v43, v51, v17
	s_load_b32 s2, s[6:7], 0x4
	v_pk_fma_f16 v13, v36, v52, v13
	v_pk_fma_f16 v35, v36, v53, v35
	v_pk_fma_f16 v16, v37, v52, v16
	v_pk_fma_f16 v17, v37, v53, v17
	v_mul_u32_u24_e32 v40, 0x10001, v69
	v_pk_fma_f16 v13, v38, v54, v13
	v_pk_fma_f16 v35, v38, v55, v35
	v_pk_fma_f16 v16, v39, v54, v16
	v_pk_fma_f16 v17, v39, v55, v17
	v_mul_u32_u24_e32 v41, 0x10001, v68
	;; [unrolled: 5-line block ×3, first 2 shown]
	v_mul_u32_u24_e32 v37, 0x10001, v70
	v_pk_fma_f16 v13, v46, v40, v13
	v_pk_fma_f16 v35, v46, v41, v35
	;; [unrolled: 1-line block ×4, first 2 shown]
	v_mul_u32_u24_e32 v38, 0x10001, v73
	v_mul_u32_u24_e32 v39, 0x10001, v72
	v_pk_fma_f16 v13, v0, v36, v13
	v_pk_fma_f16 v0, v0, v37, v35
	;; [unrolled: 1-line block ×4, first 2 shown]
	s_wait_kmcnt 0x0
	s_lshl_b32 s2, s2, 5
	v_pk_fma_f16 v37, v2, v38, v13
	v_pk_fma_f16 v35, v2, v39, v0
	;; [unrolled: 1-line block ×4, first 2 shown]
	s_add_co_i32 s10, s2, s10
	s_delay_alu instid0(SALU_CYCLE_1)
	s_cmp_ge_i32 s10, s30
	s_cbranch_scc0 .LBB13_13
; %bb.14:
	v_mov_b32_e32 v0, v21
.LBB13_15:
	v_cmp_lt_i32_e32 vcc_lo, v26, v12
	s_cmp_lg_u64 s[12:13], 0
	s_cselect_b32 s2, -1, 0
	s_cmp_eq_u32 s5, 0
	v_cndmask_b32_e32 v1, v0, v26, vcc_lo
	v_cmp_lt_i32_e32 vcc_lo, v25, v12
	s_cselect_b32 s3, -1, 0
	s_delay_alu instid0(SALU_CYCLE_1) | instskip(NEXT) | instid1(VALU_DEP_2)
	s_and_b32 s2, s3, s2
	v_lshlrev_b32_e32 v1, 2, v1
	ds_bpermute_b32 v2, v1, v6
	ds_bpermute_b32 v3, v1, v7
	v_cndmask_b32_e32 v1, v0, v25, vcc_lo
	v_cmp_lt_i32_e32 vcc_lo, v24, v12
	s_delay_alu instid0(VALU_DEP_2)
	v_lshlrev_b32_e32 v1, 2, v1
	s_wait_dscnt 0x0
	v_pk_add_f32 v[2:3], v[6:7], v[2:3]
	ds_bpermute_b32 v6, v1, v2
	ds_bpermute_b32 v7, v1, v3
	v_cndmask_b32_e32 v1, v0, v24, vcc_lo
	v_cmp_lt_i32_e32 vcc_lo, v23, v12
	s_delay_alu instid0(VALU_DEP_2)
	v_lshlrev_b32_e32 v1, 2, v1
	s_wait_dscnt 0x0
	v_pk_add_f32 v[2:3], v[2:3], v[6:7]
	ds_bpermute_b32 v6, v1, v2
	ds_bpermute_b32 v7, v1, v3
	v_cndmask_b32_e32 v1, v0, v23, vcc_lo
	v_cmp_lt_i32_e32 vcc_lo, v22, v12
	s_delay_alu instid0(VALU_DEP_2) | instskip(SKIP_1) | instid1(VALU_DEP_1)
	v_dual_cndmask_b32 v0, v0, v22 :: v_dual_lshlrev_b32 v1, 2, v1
	s_and_b32 vcc_lo, exec_lo, s2
	v_lshlrev_b32_e32 v8, 2, v0
	s_wait_dscnt 0x0
	v_pk_add_f32 v[2:3], v[2:3], v[6:7]
	ds_bpermute_b32 v6, v1, v2
	ds_bpermute_b32 v7, v1, v3
	s_wait_dscnt 0x0
	v_pk_add_f32 v[0:1], v[2:3], v[6:7]
	ds_bpermute_b32 v2, v8, v0
	ds_bpermute_b32 v3, v8, v1
	s_wait_dscnt 0x0
	v_pk_add_f32 v[0:1], v[0:1], v[2:3]
	v_add_nc_u32_e32 v2, s33, v4
	s_cbranch_vccz .LBB13_17
; %bb.16:
	s_delay_alu instid0(VALU_DEP_1) | instskip(NEXT) | instid1(VALU_DEP_1)
	v_dual_ashrrev_i32 v3, 31, v2 :: v_dual_max_num_f32 v9, v15, v15
	v_lshl_add_u64 v[6:7], v[2:3], 2, s[12:13]
	global_load_b64 v[6:7], v[6:7], off
	s_wait_loadcnt 0x0
	v_dual_max_num_f32 v3, v14, v14 :: v_dual_max_num_f32 v10, v7, v7
	s_delay_alu instid0(VALU_DEP_1) | instskip(NEXT) | instid1(VALU_DEP_1)
	v_max_num_f32_e32 v9, v9, v10
	v_dual_max_num_f32 v4, v6, v6 :: v_dual_sub_f32 v10, v15, v9
	s_delay_alu instid0(VALU_DEP_1) | instskip(NEXT) | instid1(VALU_DEP_1)
	v_max_num_f32_e32 v8, v3, v4
	v_dual_sub_f32 v11, v7, v9 :: v_dual_sub_f32 v4, v6, v8
	s_delay_alu instid0(VALU_DEP_1) | instskip(SKIP_1) | instid1(VALU_DEP_2)
	v_mul_f32_e32 v7, 0x3fb8aa3b, v4
	v_sub_f32_e32 v3, v14, v8
	v_fma_f32 v17, 0x3fb8aa3b, v4, -v7
	v_rndne_f32_e32 v20, v7
	s_delay_alu instid0(VALU_DEP_3) | instskip(SKIP_1) | instid1(VALU_DEP_4)
	v_mul_f32_e32 v6, 0x3fb8aa3b, v3
	v_cmp_ngt_f32_e32 vcc_lo, 0xc2ce8ed0, v3
	v_fmac_f32_e32 v17, 0x32a5705f, v4
	s_delay_alu instid0(VALU_DEP_4) | instskip(NEXT) | instid1(VALU_DEP_4)
	v_dual_sub_f32 v7, v7, v20 :: v_dual_mul_f32 v12, 0x3fb8aa3b, v10
	v_fma_f32 v15, 0x3fb8aa3b, v3, -v6
	v_rndne_f32_e32 v16, v6
	s_delay_alu instid0(VALU_DEP_3) | instskip(NEXT) | instid1(VALU_DEP_4)
	v_add_f32_e32 v7, v7, v17
	v_fma_f32 v21, 0x3fb8aa3b, v10, -v12
	v_rndne_f32_e32 v22, v12
	s_delay_alu instid0(VALU_DEP_4) | instskip(SKIP_1) | instid1(VALU_DEP_4)
	v_dual_fmac_f32 v15, 0x32a5705f, v3 :: v_dual_sub_f32 v6, v6, v16
	v_cvt_i32_f32_e32 v16, v16
	v_fmac_f32_e32 v21, 0x32a5705f, v10
	s_delay_alu instid0(VALU_DEP_4)
	v_sub_f32_e32 v12, v12, v22
	v_cvt_i32_f32_e32 v17, v22
	v_add_f32_e32 v6, v6, v15
	v_exp_f32_e32 v7, v7
	v_cvt_i32_f32_e32 v15, v20
	v_add_f32_e32 v12, v12, v21
	s_delay_alu instid0(VALU_DEP_3) | instskip(NEXT) | instid1(VALU_DEP_1)
	v_exp_f32_e32 v6, v6
	v_exp_f32_e32 v12, v12
	s_delay_alu instid0(TRANS32_DEP_2) | instskip(NEXT) | instid1(TRANS32_DEP_1)
	v_ldexp_f32 v6, v6, v16
	v_ldexp_f32 v12, v12, v17
	s_delay_alu instid0(VALU_DEP_2) | instskip(SKIP_1) | instid1(VALU_DEP_3)
	v_cndmask_b32_e32 v6, 0, v6, vcc_lo
	v_cmp_ngt_f32_e32 vcc_lo, 0xc2ce8ed0, v10
	v_cndmask_b32_e32 v12, 0, v12, vcc_lo
	v_cmp_nlt_f32_e32 vcc_lo, 0x42b17218, v3
	v_ldexp_f32 v3, v7, v15
	v_cndmask_b32_e32 v6, 0x7f800000, v6, vcc_lo
	v_cmp_nlt_f32_e32 vcc_lo, 0x42b17218, v10
	v_cndmask_b32_e32 v7, 0x7f800000, v12, vcc_lo
	v_cmp_ngt_f32_e32 vcc_lo, 0xc2ce8ed0, v4
	s_delay_alu instid0(VALU_DEP_4) | instskip(SKIP_3) | instid1(VALU_DEP_4)
	v_cvt_f16_f32_e32 v12, v6
	v_cndmask_b32_e32 v3, 0, v3, vcc_lo
	v_cmp_ngt_f32_e32 vcc_lo, 0xc2ce8ed0, v11
	v_mul_f32_e32 v14, 0x3fb8aa3b, v11
	v_and_b32_e32 v12, 0xffff, v12
	s_delay_alu instid0(VALU_DEP_2) | instskip(SKIP_1) | instid1(VALU_DEP_1)
	v_fma_f32 v23, 0x3fb8aa3b, v11, -v14
	v_rndne_f32_e32 v24, v14
	v_dual_fmac_f32 v23, 0x32a5705f, v11 :: v_dual_sub_f32 v14, v14, v24
	v_cvt_i32_f32_e32 v20, v24
	s_delay_alu instid0(VALU_DEP_2) | instskip(NEXT) | instid1(VALU_DEP_1)
	v_add_f32_e32 v14, v14, v23
	v_exp_f32_e32 v14, v14
	v_nop
	s_delay_alu instid0(TRANS32_DEP_1) | instskip(SKIP_1) | instid1(VALU_DEP_2)
	v_ldexp_f32 v10, v14, v20
	v_cvt_f16_f32_e32 v14, v7
	v_cndmask_b32_e32 v15, 0, v10, vcc_lo
	v_cmp_nlt_f32_e32 vcc_lo, 0x42b17218, v4
	v_mul_u32_u24_e32 v4, 0x10001, v12
	v_cndmask_b32_e32 v10, 0x7f800000, v3, vcc_lo
	v_and_b32_e32 v3, 0xffff, v14
	v_cmp_nlt_f32_e32 vcc_lo, 0x42b17218, v11
	s_delay_alu instid0(VALU_DEP_4) | instskip(SKIP_1) | instid1(VALU_DEP_4)
	v_pk_mul_f16 v37, v37, v4
	v_pk_mul_f16 v36, v36, v4
	v_mul_u32_u24_e32 v3, 0x10001, v3
	v_cndmask_b32_e32 v11, 0x7f800000, v15, vcc_lo
	v_mov_b64_e32 v[14:15], v[8:9]
	s_delay_alu instid0(VALU_DEP_3) | instskip(NEXT) | instid1(VALU_DEP_3)
	v_pk_mul_f16 v35, v35, v3
	v_pk_fma_f32 v[0:1], v[0:1], v[6:7], v[10:11]
	v_pk_mul_f16 v13, v13, v3
.LBB13_17:
	s_mov_b32 s2, exec_lo
	v_cmpx_gt_i32_e64 s22, v18
	s_cbranch_execz .LBB13_26
; %bb.18:
	s_load_b32 s0, s[0:1], 0xd4
	v_mov_b32_e32 v4, 1.0
	s_wait_kmcnt 0x0
	s_cmp_lg_u32 s0, 1
	s_cselect_b32 s2, -1, 0
	s_cmp_eq_u32 s0, 1
	s_cselect_b32 s1, -1, 0
	s_and_b32 vcc_lo, exec_lo, s2
	s_cbranch_vccnz .LBB13_20
; %bb.19:
	v_div_scale_f32 v3, null, v0, v0, 1.0
	s_delay_alu instid0(VALU_DEP_1) | instskip(SKIP_1) | instid1(TRANS32_DEP_1)
	v_rcp_f32_e32 v4, v3
	v_nop
	v_fma_f32 v6, -v3, v4, 1.0
	s_delay_alu instid0(VALU_DEP_1) | instskip(SKIP_1) | instid1(VALU_DEP_1)
	v_fmac_f32_e32 v4, v6, v4
	v_div_scale_f32 v6, vcc_lo, 1.0, v0, 1.0
	v_mul_f32_e32 v7, v6, v4
	s_delay_alu instid0(VALU_DEP_1) | instskip(NEXT) | instid1(VALU_DEP_1)
	v_fma_f32 v8, -v3, v7, v6
	v_fmac_f32_e32 v7, v8, v4
	s_delay_alu instid0(VALU_DEP_1) | instskip(NEXT) | instid1(VALU_DEP_1)
	v_fma_f32 v3, -v3, v7, v6
	v_div_fmas_f32 v3, v3, v4, v7
	s_delay_alu instid0(VALU_DEP_1)
	v_div_fixup_f32 v4, v3, v0, 1.0
.LBB13_20:
	v_mad_u32 v3, s28, s22, v18
	v_lshrrev_b32_e32 v11, 16, v36
	v_cvt_f32_f16_e32 v6, v37
	v_cvt_f32_f16_e32 v10, v36
	v_cmp_eq_u32_e32 vcc_lo, 0, v5
	v_mov_b32_e32 v9, 0
	v_cvt_f32_f16_e32 v11, v11
	s_and_b32 s2, vcc_lo, s2
	v_mad_u32 v2, v3, s23, v2
	v_lshrrev_b32_e32 v3, 16, v37
	s_delay_alu instid0(VALU_DEP_1) | instskip(NEXT) | instid1(VALU_DEP_1)
	v_cvt_f32_f16_e32 v7, v3
	v_pk_mul_f32 v[6:7], v[4:5], v[6:7] op_sel_hi:[0,1]
	s_delay_alu instid0(VALU_DEP_4) | instskip(NEXT) | instid1(VALU_DEP_1)
	v_mad_u32 v2, s0, v2, s5
	v_lshl_add_u32 v8, v2, 7, v19
	s_delay_alu instid0(VALU_DEP_1)
	v_lshl_add_u64 v[16:17], v[8:9], 2, s[16:17]
	v_pk_mul_f32 v[8:9], v[4:5], v[10:11] op_sel_hi:[0,1]
	global_store_b128 v[16:17], v[6:9], off
	s_wait_xcnt 0x0
	s_and_saveexec_b32 s3, s2
	s_cbranch_execz .LBB13_22
; %bb.21:
	v_dual_mov_b32 v4, v14 :: v_dual_mov_b32 v5, v0
	global_store_b64 v2, v[4:5], s[18:19] scale_offset
.LBB13_22:
	s_wait_xcnt 0x0
	s_or_b32 exec_lo, exec_lo, s3
	v_mov_b32_e32 v0, 1.0
	s_and_not1_b32 vcc_lo, exec_lo, s1
	s_cbranch_vccnz .LBB13_24
; %bb.23:
	v_div_scale_f32 v0, null, v1, v1, 1.0
	s_delay_alu instid0(VALU_DEP_1) | instskip(SKIP_1) | instid1(TRANS32_DEP_1)
	v_rcp_f32_e32 v3, v0
	v_nop
	v_fma_f32 v4, -v0, v3, 1.0
	s_delay_alu instid0(VALU_DEP_1) | instskip(SKIP_1) | instid1(VALU_DEP_1)
	v_fmac_f32_e32 v3, v4, v3
	v_div_scale_f32 v4, vcc_lo, 1.0, v1, 1.0
	v_mul_f32_e32 v5, v4, v3
	s_delay_alu instid0(VALU_DEP_1) | instskip(NEXT) | instid1(VALU_DEP_1)
	v_fma_f32 v6, -v0, v5, v4
	v_fmac_f32_e32 v5, v6, v3
	s_delay_alu instid0(VALU_DEP_1) | instskip(NEXT) | instid1(VALU_DEP_1)
	v_fma_f32 v0, -v0, v5, v4
	v_div_fmas_f32 v0, v0, v3, v5
	s_delay_alu instid0(VALU_DEP_1)
	v_div_fixup_f32 v0, v0, v1, 1.0
.LBB13_24:
	v_dual_add_nc_u32 v2, s0, v2 :: v_dual_lshrrev_b32 v3, 16, v35
	v_dual_mov_b32 v5, 0 :: v_dual_lshrrev_b32 v9, 16, v13
	v_cvt_f32_f16_e32 v6, v35
	s_delay_alu instid0(VALU_DEP_3) | instskip(NEXT) | instid1(VALU_DEP_4)
	v_lshl_add_u32 v4, v2, 7, v19
	v_cvt_f32_f16_e32 v7, v3
	v_cvt_f32_f16_e32 v8, v13
	;; [unrolled: 1-line block ×3, first 2 shown]
	s_delay_alu instid0(VALU_DEP_4) | instskip(NEXT) | instid1(VALU_DEP_4)
	v_lshl_add_u64 v[10:11], v[4:5], 2, s[16:17]
	v_pk_mul_f32 v[4:5], v[0:1], v[6:7] op_sel_hi:[0,1]
	s_delay_alu instid0(VALU_DEP_3)
	v_pk_mul_f32 v[6:7], v[0:1], v[8:9] op_sel_hi:[0,1]
	global_store_b128 v[10:11], v[4:7], off
	s_wait_xcnt 0x0
	s_and_b32 exec_lo, exec_lo, s2
	s_cbranch_execz .LBB13_26
; %bb.25:
	v_mov_b32_e32 v0, v15
	global_store_b64 v2, v[0:1], s[18:19] scale_offset
.LBB13_26:
	s_sendmsg sendmsg(MSG_DEALLOC_VGPRS)
	s_endpgm
	.section	.rodata,"a",@progbits
	.p2align	6, 0x0
	.amdhsa_kernel _ZL15flash_attn_tileILi192ELi128ELi2ELi8ELb0EEvPKcS1_S1_S1_S1_PKiPfP15HIP_vector_typeIfLj2EEffffjfiS5_IjLj3EEiiiiiiiiiiiliiliiiiil
		.amdhsa_group_segment_fixed_size 11776
		.amdhsa_private_segment_fixed_size 0
		.amdhsa_kernarg_size 464
		.amdhsa_user_sgpr_count 2
		.amdhsa_user_sgpr_dispatch_ptr 0
		.amdhsa_user_sgpr_queue_ptr 0
		.amdhsa_user_sgpr_kernarg_segment_ptr 1
		.amdhsa_user_sgpr_dispatch_id 0
		.amdhsa_user_sgpr_kernarg_preload_length 0
		.amdhsa_user_sgpr_kernarg_preload_offset 0
		.amdhsa_user_sgpr_private_segment_size 0
		.amdhsa_wavefront_size32 1
		.amdhsa_uses_dynamic_stack 0
		.amdhsa_enable_private_segment 0
		.amdhsa_system_sgpr_workgroup_id_x 1
		.amdhsa_system_sgpr_workgroup_id_y 1
		.amdhsa_system_sgpr_workgroup_id_z 1
		.amdhsa_system_sgpr_workgroup_info 0
		.amdhsa_system_vgpr_workitem_id 1
		.amdhsa_next_free_vgpr 74
		.amdhsa_next_free_sgpr 43
		.amdhsa_named_barrier_count 0
		.amdhsa_reserve_vcc 1
		.amdhsa_float_round_mode_32 0
		.amdhsa_float_round_mode_16_64 0
		.amdhsa_float_denorm_mode_32 3
		.amdhsa_float_denorm_mode_16_64 3
		.amdhsa_fp16_overflow 0
		.amdhsa_memory_ordered 1
		.amdhsa_forward_progress 1
		.amdhsa_inst_pref_size 62
		.amdhsa_round_robin_scheduling 0
		.amdhsa_exception_fp_ieee_invalid_op 0
		.amdhsa_exception_fp_denorm_src 0
		.amdhsa_exception_fp_ieee_div_zero 0
		.amdhsa_exception_fp_ieee_overflow 0
		.amdhsa_exception_fp_ieee_underflow 0
		.amdhsa_exception_fp_ieee_inexact 0
		.amdhsa_exception_int_div_zero 0
	.end_amdhsa_kernel
	.section	.text._ZL15flash_attn_tileILi192ELi128ELi2ELi8ELb0EEvPKcS1_S1_S1_S1_PKiPfP15HIP_vector_typeIfLj2EEffffjfiS5_IjLj3EEiiiiiiiiiiiliiliiiiil,"axG",@progbits,_ZL15flash_attn_tileILi192ELi128ELi2ELi8ELb0EEvPKcS1_S1_S1_S1_PKiPfP15HIP_vector_typeIfLj2EEffffjfiS5_IjLj3EEiiiiiiiiiiiliiliiiiil,comdat
.Lfunc_end13:
	.size	_ZL15flash_attn_tileILi192ELi128ELi2ELi8ELb0EEvPKcS1_S1_S1_S1_PKiPfP15HIP_vector_typeIfLj2EEffffjfiS5_IjLj3EEiiiiiiiiiiiliiliiiiil, .Lfunc_end13-_ZL15flash_attn_tileILi192ELi128ELi2ELi8ELb0EEvPKcS1_S1_S1_S1_PKiPfP15HIP_vector_typeIfLj2EEffffjfiS5_IjLj3EEiiiiiiiiiiiliiliiiiil
                                        ; -- End function
	.set _ZL15flash_attn_tileILi192ELi128ELi2ELi8ELb0EEvPKcS1_S1_S1_S1_PKiPfP15HIP_vector_typeIfLj2EEffffjfiS5_IjLj3EEiiiiiiiiiiiliiliiiiil.num_vgpr, 74
	.set _ZL15flash_attn_tileILi192ELi128ELi2ELi8ELb0EEvPKcS1_S1_S1_S1_PKiPfP15HIP_vector_typeIfLj2EEffffjfiS5_IjLj3EEiiiiiiiiiiiliiliiiiil.num_agpr, 0
	.set _ZL15flash_attn_tileILi192ELi128ELi2ELi8ELb0EEvPKcS1_S1_S1_S1_PKiPfP15HIP_vector_typeIfLj2EEffffjfiS5_IjLj3EEiiiiiiiiiiiliiliiiiil.numbered_sgpr, 43
	.set _ZL15flash_attn_tileILi192ELi128ELi2ELi8ELb0EEvPKcS1_S1_S1_S1_PKiPfP15HIP_vector_typeIfLj2EEffffjfiS5_IjLj3EEiiiiiiiiiiiliiliiiiil.num_named_barrier, 0
	.set _ZL15flash_attn_tileILi192ELi128ELi2ELi8ELb0EEvPKcS1_S1_S1_S1_PKiPfP15HIP_vector_typeIfLj2EEffffjfiS5_IjLj3EEiiiiiiiiiiiliiliiiiil.private_seg_size, 0
	.set _ZL15flash_attn_tileILi192ELi128ELi2ELi8ELb0EEvPKcS1_S1_S1_S1_PKiPfP15HIP_vector_typeIfLj2EEffffjfiS5_IjLj3EEiiiiiiiiiiiliiliiiiil.uses_vcc, 1
	.set _ZL15flash_attn_tileILi192ELi128ELi2ELi8ELb0EEvPKcS1_S1_S1_S1_PKiPfP15HIP_vector_typeIfLj2EEffffjfiS5_IjLj3EEiiiiiiiiiiiliiliiiiil.uses_flat_scratch, 0
	.set _ZL15flash_attn_tileILi192ELi128ELi2ELi8ELb0EEvPKcS1_S1_S1_S1_PKiPfP15HIP_vector_typeIfLj2EEffffjfiS5_IjLj3EEiiiiiiiiiiiliiliiiiil.has_dyn_sized_stack, 0
	.set _ZL15flash_attn_tileILi192ELi128ELi2ELi8ELb0EEvPKcS1_S1_S1_S1_PKiPfP15HIP_vector_typeIfLj2EEffffjfiS5_IjLj3EEiiiiiiiiiiiliiliiiiil.has_recursion, 0
	.set _ZL15flash_attn_tileILi192ELi128ELi2ELi8ELb0EEvPKcS1_S1_S1_S1_PKiPfP15HIP_vector_typeIfLj2EEffffjfiS5_IjLj3EEiiiiiiiiiiiliiliiiiil.has_indirect_call, 0
	.section	.AMDGPU.csdata,"",@progbits
; Kernel info:
; codeLenInByte = 7848
; TotalNumSgprs: 45
; NumVgprs: 74
; ScratchSize: 0
; MemoryBound: 0
; FloatMode: 240
; IeeeMode: 1
; LDSByteSize: 11776 bytes/workgroup (compile time only)
; SGPRBlocks: 0
; VGPRBlocks: 4
; NumSGPRsForWavesPerEU: 45
; NumVGPRsForWavesPerEU: 74
; NamedBarCnt: 0
; Occupancy: 12
; WaveLimiterHint : 1
; COMPUTE_PGM_RSRC2:SCRATCH_EN: 0
; COMPUTE_PGM_RSRC2:USER_SGPR: 2
; COMPUTE_PGM_RSRC2:TRAP_HANDLER: 0
; COMPUTE_PGM_RSRC2:TGID_X_EN: 1
; COMPUTE_PGM_RSRC2:TGID_Y_EN: 1
; COMPUTE_PGM_RSRC2:TGID_Z_EN: 1
; COMPUTE_PGM_RSRC2:TIDIG_COMP_CNT: 1
	.section	.text._ZL33flash_attn_stream_k_fixup_uniformILi128ELi2ELi8EEvPfPK15HIP_vector_typeIfLj2EEiiiiiiS1_IjLj3EES5_S5_,"axG",@progbits,_ZL33flash_attn_stream_k_fixup_uniformILi128ELi2ELi8EEvPfPK15HIP_vector_typeIfLj2EEiiiiiiS1_IjLj3EES5_S5_,comdat
	.globl	_ZL33flash_attn_stream_k_fixup_uniformILi128ELi2ELi8EEvPfPK15HIP_vector_typeIfLj2EEiiiiiiS1_IjLj3EES5_S5_ ; -- Begin function _ZL33flash_attn_stream_k_fixup_uniformILi128ELi2ELi8EEvPfPK15HIP_vector_typeIfLj2EEiiiiiiS1_IjLj3EES5_S5_
	.p2align	8
	.type	_ZL33flash_attn_stream_k_fixup_uniformILi128ELi2ELi8EEvPfPK15HIP_vector_typeIfLj2EEiiiiiiS1_IjLj3EES5_S5_,@function
_ZL33flash_attn_stream_k_fixup_uniformILi128ELi2ELi8EEvPfPK15HIP_vector_typeIfLj2EEiiiiiiS1_IjLj3EES5_S5_: ; @_ZL33flash_attn_stream_k_fixup_uniformILi128ELi2ELi8EEvPfPK15HIP_vector_typeIfLj2EEiiiiiiS1_IjLj3EES5_S5_
; %bb.0:
	s_load_b256 s[4:11], s[0:1], 0x1c
	s_bfe_u32 s2, ttmp6, 0x40014
	s_lshr_b32 s3, ttmp7, 16
	s_add_co_i32 s2, s2, 1
	s_bfe_u32 s13, ttmp6, 0x40010
	s_mul_i32 s2, s3, s2
	s_bfe_u32 s12, ttmp6, 0x40008
	s_and_b32 s15, ttmp7, 0xffff
	s_add_co_i32 s13, s13, 1
	s_bfe_u32 s14, ttmp6, 0x4000c
	s_add_co_i32 s12, s12, s2
	s_mul_i32 s2, s15, s13
	s_bfe_u32 s13, ttmp6, 0x40004
	s_add_co_i32 s14, s14, 1
	s_add_co_i32 s13, s13, s2
	s_and_b32 s2, ttmp6, 15
	s_mul_i32 s14, ttmp9, s14
	s_getreg_b32 s20, hwreg(HW_REG_IB_STS2, 6, 4)
	s_add_co_i32 s2, s2, s14
	s_load_b128 s[16:19], s[0:1], 0x3c
	s_cmp_eq_u32 s20, 0
	s_cselect_b32 s14, ttmp9, s2
	s_cselect_b32 s13, s15, s13
	s_wait_kmcnt 0x0
	s_mul_hi_u32 s2, s7, s14
	s_cselect_b32 s12, s3, s12
	s_add_co_i32 s2, s14, s2
	s_delay_alu instid0(SALU_CYCLE_1) | instskip(NEXT) | instid1(SALU_CYCLE_1)
	s_lshr_b32 s7, s2, s8
	s_mul_i32 s2, s7, s9
	s_delay_alu instid0(SALU_CYCLE_1) | instskip(NEXT) | instid1(SALU_CYCLE_1)
	s_sub_co_i32 s8, s14, s2
	s_mul_hi_u32 s2, s8, s10
	s_delay_alu instid0(SALU_CYCLE_1) | instskip(SKIP_2) | instid1(SALU_CYCLE_1)
	s_add_co_i32 s9, s8, s2
	s_load_b64 s[2:3], s[0:1], 0x10
	s_lshr_b32 s15, s9, s11
	s_mul_i32 s9, s15, s16
	s_delay_alu instid0(SALU_CYCLE_1) | instskip(NEXT) | instid1(SALU_CYCLE_1)
	s_sub_co_i32 s8, s8, s9
	s_mul_hi_u32 s9, s8, s17
	s_delay_alu instid0(SALU_CYCLE_1) | instskip(NEXT) | instid1(SALU_CYCLE_1)
	s_add_co_i32 s9, s8, s9
	s_lshr_b32 s9, s9, s18
	s_delay_alu instid0(SALU_CYCLE_1) | instskip(SKIP_2) | instid1(SALU_CYCLE_1)
	s_mul_i32 s10, s9, s19
	s_lshl_b32 s17, s9, 3
	s_sub_co_i32 s16, s8, s10
	s_lshl_b32 s8, s16, 1
	s_delay_alu instid0(SALU_CYCLE_1) | instskip(SKIP_4) | instid1(SALU_CYCLE_1)
	s_add_co_i32 s8, s8, s13
	s_wait_kmcnt 0x0
	s_cmp_lt_i32 s8, s2
	s_cselect_b32 s8, -1, 0
	s_add_co_i32 s9, s17, s12
	s_cmp_lt_i32 s9, s5
	s_cselect_b32 s9, -1, 0
	s_delay_alu instid0(SALU_CYCLE_1) | instskip(NEXT) | instid1(SALU_CYCLE_1)
	s_and_b32 s8, s8, s9
	s_and_not1_b32 vcc_lo, exec_lo, s8
	s_cbranch_vccnz .LBB14_6
; %bb.1:
	s_mul_i32 s2, s7, s2
	s_load_b128 s[8:11], s[0:1], 0x0
	s_wait_xcnt 0x0
	s_add_co_i32 s0, s2, s13
	s_mul_i32 s15, s15, s5
	s_mul_i32 s0, s0, s3
	;; [unrolled: 1-line block ×3, first 2 shown]
	s_add_co_i32 s0, s0, s12
	s_lshl_b32 s1, s1, 8
	s_add_co_i32 s0, s0, s15
	s_mul_i32 s7, s6, s14
	s_add_co_i32 s0, s0, s17
	s_lshl_b32 s5, s13, 3
	s_lshl_b32 s0, s0, 7
	s_add_co_i32 s15, s7, s6
	s_add_co_i32 s1, s1, s0
	;; [unrolled: 1-line block ×3, first 2 shown]
	v_or_b32_e32 v4, s1, v0
	s_lshl_b32 s1, s15, 4
	s_add_co_i32 s2, s15, -2
	s_add_co_i32 s0, s0, s1
	s_delay_alu instid0(SALU_CYCLE_1)
	s_add_co_i32 s0, s0, -16
	s_wait_kmcnt 0x0
	global_load_b32 v3, v4, s[8:9] scale_offset
	s_ashr_i32 s1, s0, 31
	v_ashrrev_i32_e32 v5, 31, v4
	s_lshl_b64 s[0:1], s[0:1], 3
	s_cmp_lt_i32 s2, s7
	s_add_nc_u64 s[0:1], s[10:11], s[0:1]
	s_load_b32 s16, s[0:1], 0x4
	s_cbranch_scc1 .LBB14_4
; %bb.2:
	s_wait_xcnt 0x0
	s_load_b32 s0, s[0:1], 0x0
	s_add_co_i32 s14, s14, 1
	s_lshl_b32 s3, s13, 10
	s_wait_xcnt 0x0
	s_mul_i32 s1, s6, s14
	s_lshl_b32 s6, s12, 7
	s_lshl_b32 s13, s1, 11
	s_add_co_i32 s6, s6, s3
	s_lshl_b32 s1, s1, 4
	s_add_co_i32 s6, s6, s13
	s_lshl_b32 s2, s4, 6
	s_wait_kmcnt 0x0
	v_dual_mov_b32 v2, s16 :: v_dual_bitop2_b32 v0, s6, v0 bitop3:0x54
	s_add_co_i32 s1, s12, s1
	s_lshl_b32 s4, s4, 4
	s_ashr_i32 s3, s2, 31
	s_add_co_i32 s1, s1, s4
	v_add_nc_u32_e32 v0, 0xfffff000, v0
	s_lshl_b64 s[2:3], s[2:3], 2
	s_add_co_i32 s4, s1, s5
	s_add_nc_u64 s[2:3], s[10:11], s[2:3]
	s_add_co_i32 s1, s15, -1
	s_sub_co_i32 s4, s4, 32
.LBB14_3:                               ; =>This Inner Loop Header: Depth=1
	global_load_b32 v7, v0, s[2:3] scale_offset
	s_ashr_i32 s5, s4, 31
	v_max_num_f32_e64 v1, s0, s0
	s_lshl_b64 s[12:13], s[4:5], 3
	s_delay_alu instid0(SALU_CYCLE_1) | instskip(SKIP_1) | instid1(VALU_DEP_1)
	s_add_nc_u64 s[12:13], s[10:11], s[12:13]
	s_load_b64 s[12:13], s[12:13], 0x0
	v_readfirstlane_b32 s5, v1
	v_add_nc_u32_e32 v0, 0xfffff800, v0
	s_wait_kmcnt 0x0
	v_max_num_f32_e64 v1, s12, s12
	s_delay_alu instid0(VALU_DEP_1) | instskip(SKIP_1) | instid1(SALU_CYCLE_3)
	v_readfirstlane_b32 s6, v1
	s_max_num_f32 s5, s5, s6
	s_sub_f32 s0, s0, s5
	s_sub_f32 s6, s12, s5
	s_delay_alu instid0(SALU_CYCLE_2) | instskip(NEXT) | instid1(SALU_CYCLE_2)
	s_mul_f32 s12, s0, 0x3fb8aa3b
	s_mul_f32 s14, s6, 0x3fb8aa3b
	s_delay_alu instid0(SALU_CYCLE_2)
	s_xor_b32 s15, s12, 0x80000000
	s_rndne_f32 s16, s12
	s_fmamk_f32 s15, s0, 0x3fb8aa3b, s15
	s_cmp_nlt_f32 s0, 0xc2ce8ed0
	s_rndne_f32 s17, s14
	s_sub_f32 s12, s12, s16
	s_fmamk_f32 s15, s0, 0x32a5705f, s15
	s_cselect_b32 vcc_lo, -1, 0
	s_cmp_ngt_f32 s0, 0x42b17218
	s_delay_alu instid0(SALU_CYCLE_1) | instskip(SKIP_2) | instid1(SALU_CYCLE_1)
	s_add_f32 s12, s12, s15
	s_cvt_i32_f32 s15, s16
	s_sub_f32 s16, s14, s17
	v_s_exp_f32 s12, s12
	v_nop
	s_delay_alu instid0(TRANS32_DEP_1) | instskip(SKIP_1) | instid1(VALU_DEP_1)
	v_ldexp_f32 v1, s12, s15
	s_cvt_i32_f32 s12, s17
	v_cndmask_b32_e32 v1, 0, v1, vcc_lo
	s_cselect_b32 vcc_lo, -1, 0
	s_cmp_ge_f32 s0, 0xc1a00000
	s_delay_alu instid0(VALU_DEP_1)
	v_cndmask_b32_e32 v1, 0x7f800000, v1, vcc_lo
	s_cselect_b32 vcc_lo, -1, 0
	s_xor_b32 s0, s14, 0x80000000
	s_cmp_nlt_f32 s6, 0xc2ce8ed0
	s_fmamk_f32 s0, s6, 0x3fb8aa3b, s0
	v_cndmask_b32_e32 v10, 0, v1, vcc_lo
	s_delay_alu instid0(SALU_CYCLE_2) | instskip(NEXT) | instid1(SALU_CYCLE_3)
	s_fmamk_f32 s0, s6, 0x32a5705f, s0
	s_add_f32 s0, s16, s0
	s_delay_alu instid0(SALU_CYCLE_3) | instskip(SKIP_1) | instid1(TRANS32_DEP_1)
	v_s_exp_f32 s0, s0
	v_nop
	v_ldexp_f32 v6, s0, s12
	s_cselect_b32 s0, -1, 0
	s_cmp_ngt_f32 s6, 0x42b17218
	s_delay_alu instid0(VALU_DEP_1) | instskip(SKIP_2) | instid1(VALU_DEP_1)
	v_cndmask_b32_e64 v6, 0, v6, s0
	s_cselect_b32 s0, -1, 0
	s_cmp_ge_f32 s6, 0xc1a00000
	v_cndmask_b32_e64 v8, 0x7f800000, v6, s0
	s_cselect_b32 s0, -1, 0
	v_mov_b32_e32 v6, s13
	s_add_co_i32 s1, s1, -1
	s_add_co_i32 s4, s4, -16
	v_cndmask_b32_e64 v8, 0, v8, s0
	s_cmp_le_i32 s1, s7
	s_mov_b32 s0, s5
	s_wait_loadcnt 0x0
	s_delay_alu instid0(VALU_DEP_1) | instskip(NEXT) | instid1(VALU_DEP_1)
	v_pk_mul_f32 v[6:7], v[6:7], v[8:9] op_sel_hi:[1,0]
	v_pk_fma_f32 v[2:3], v[2:3], v[10:11], v[6:7] op_sel_hi:[1,0,1]
	s_cbranch_scc0 .LBB14_3
	s_branch .LBB14_5
.LBB14_4:
	s_wait_kmcnt 0x0
	v_mov_b32_e32 v2, s16
.LBB14_5:
	v_lshl_add_u64 v[0:1], v[4:5], 2, s[8:9]
	s_wait_loadcnt 0x0
	s_delay_alu instid0(VALU_DEP_2) | instskip(NEXT) | instid1(VALU_DEP_1)
	v_div_scale_f32 v4, null, v2, v2, v3
	v_rcp_f32_e32 v5, v4
	v_nop
	s_delay_alu instid0(TRANS32_DEP_1) | instskip(NEXT) | instid1(VALU_DEP_1)
	v_fma_f32 v6, -v4, v5, 1.0
	v_fmac_f32_e32 v5, v6, v5
	v_div_scale_f32 v6, vcc_lo, v3, v2, v3
	s_delay_alu instid0(VALU_DEP_1) | instskip(NEXT) | instid1(VALU_DEP_1)
	v_mul_f32_e32 v7, v6, v5
	v_fma_f32 v8, -v4, v7, v6
	s_delay_alu instid0(VALU_DEP_1) | instskip(NEXT) | instid1(VALU_DEP_1)
	v_fmac_f32_e32 v7, v8, v5
	v_fma_f32 v4, -v4, v7, v6
	s_delay_alu instid0(VALU_DEP_1) | instskip(NEXT) | instid1(VALU_DEP_1)
	v_div_fmas_f32 v4, v4, v5, v7
	v_div_fixup_f32 v2, v4, v2, v3
	global_store_b32 v[0:1], v2, off
.LBB14_6:
	s_endpgm
	.section	.rodata,"a",@progbits
	.p2align	6, 0x0
	.amdhsa_kernel _ZL33flash_attn_stream_k_fixup_uniformILi128ELi2ELi8EEvPfPK15HIP_vector_typeIfLj2EEiiiiiiS1_IjLj3EES5_S5_
		.amdhsa_group_segment_fixed_size 0
		.amdhsa_private_segment_fixed_size 0
		.amdhsa_kernarg_size 76
		.amdhsa_user_sgpr_count 2
		.amdhsa_user_sgpr_dispatch_ptr 0
		.amdhsa_user_sgpr_queue_ptr 0
		.amdhsa_user_sgpr_kernarg_segment_ptr 1
		.amdhsa_user_sgpr_dispatch_id 0
		.amdhsa_user_sgpr_kernarg_preload_length 0
		.amdhsa_user_sgpr_kernarg_preload_offset 0
		.amdhsa_user_sgpr_private_segment_size 0
		.amdhsa_wavefront_size32 1
		.amdhsa_uses_dynamic_stack 0
		.amdhsa_enable_private_segment 0
		.amdhsa_system_sgpr_workgroup_id_x 1
		.amdhsa_system_sgpr_workgroup_id_y 1
		.amdhsa_system_sgpr_workgroup_id_z 1
		.amdhsa_system_sgpr_workgroup_info 0
		.amdhsa_system_vgpr_workitem_id 0
		.amdhsa_next_free_vgpr 12
		.amdhsa_next_free_sgpr 21
		.amdhsa_named_barrier_count 0
		.amdhsa_reserve_vcc 1
		.amdhsa_float_round_mode_32 0
		.amdhsa_float_round_mode_16_64 0
		.amdhsa_float_denorm_mode_32 3
		.amdhsa_float_denorm_mode_16_64 3
		.amdhsa_fp16_overflow 0
		.amdhsa_memory_ordered 1
		.amdhsa_forward_progress 1
		.amdhsa_inst_pref_size 9
		.amdhsa_round_robin_scheduling 0
		.amdhsa_exception_fp_ieee_invalid_op 0
		.amdhsa_exception_fp_denorm_src 0
		.amdhsa_exception_fp_ieee_div_zero 0
		.amdhsa_exception_fp_ieee_overflow 0
		.amdhsa_exception_fp_ieee_underflow 0
		.amdhsa_exception_fp_ieee_inexact 0
		.amdhsa_exception_int_div_zero 0
	.end_amdhsa_kernel
	.section	.text._ZL33flash_attn_stream_k_fixup_uniformILi128ELi2ELi8EEvPfPK15HIP_vector_typeIfLj2EEiiiiiiS1_IjLj3EES5_S5_,"axG",@progbits,_ZL33flash_attn_stream_k_fixup_uniformILi128ELi2ELi8EEvPfPK15HIP_vector_typeIfLj2EEiiiiiiS1_IjLj3EES5_S5_,comdat
.Lfunc_end14:
	.size	_ZL33flash_attn_stream_k_fixup_uniformILi128ELi2ELi8EEvPfPK15HIP_vector_typeIfLj2EEiiiiiiS1_IjLj3EES5_S5_, .Lfunc_end14-_ZL33flash_attn_stream_k_fixup_uniformILi128ELi2ELi8EEvPfPK15HIP_vector_typeIfLj2EEiiiiiiS1_IjLj3EES5_S5_
                                        ; -- End function
	.set _ZL33flash_attn_stream_k_fixup_uniformILi128ELi2ELi8EEvPfPK15HIP_vector_typeIfLj2EEiiiiiiS1_IjLj3EES5_S5_.num_vgpr, 12
	.set _ZL33flash_attn_stream_k_fixup_uniformILi128ELi2ELi8EEvPfPK15HIP_vector_typeIfLj2EEiiiiiiS1_IjLj3EES5_S5_.num_agpr, 0
	.set _ZL33flash_attn_stream_k_fixup_uniformILi128ELi2ELi8EEvPfPK15HIP_vector_typeIfLj2EEiiiiiiS1_IjLj3EES5_S5_.numbered_sgpr, 21
	.set _ZL33flash_attn_stream_k_fixup_uniformILi128ELi2ELi8EEvPfPK15HIP_vector_typeIfLj2EEiiiiiiS1_IjLj3EES5_S5_.num_named_barrier, 0
	.set _ZL33flash_attn_stream_k_fixup_uniformILi128ELi2ELi8EEvPfPK15HIP_vector_typeIfLj2EEiiiiiiS1_IjLj3EES5_S5_.private_seg_size, 0
	.set _ZL33flash_attn_stream_k_fixup_uniformILi128ELi2ELi8EEvPfPK15HIP_vector_typeIfLj2EEiiiiiiS1_IjLj3EES5_S5_.uses_vcc, 1
	.set _ZL33flash_attn_stream_k_fixup_uniformILi128ELi2ELi8EEvPfPK15HIP_vector_typeIfLj2EEiiiiiiS1_IjLj3EES5_S5_.uses_flat_scratch, 0
	.set _ZL33flash_attn_stream_k_fixup_uniformILi128ELi2ELi8EEvPfPK15HIP_vector_typeIfLj2EEiiiiiiS1_IjLj3EES5_S5_.has_dyn_sized_stack, 0
	.set _ZL33flash_attn_stream_k_fixup_uniformILi128ELi2ELi8EEvPfPK15HIP_vector_typeIfLj2EEiiiiiiS1_IjLj3EES5_S5_.has_recursion, 0
	.set _ZL33flash_attn_stream_k_fixup_uniformILi128ELi2ELi8EEvPfPK15HIP_vector_typeIfLj2EEiiiiiiS1_IjLj3EES5_S5_.has_indirect_call, 0
	.section	.AMDGPU.csdata,"",@progbits
; Kernel info:
; codeLenInByte = 1092
; TotalNumSgprs: 23
; NumVgprs: 12
; ScratchSize: 0
; MemoryBound: 0
; FloatMode: 240
; IeeeMode: 1
; LDSByteSize: 0 bytes/workgroup (compile time only)
; SGPRBlocks: 0
; VGPRBlocks: 0
; NumSGPRsForWavesPerEU: 23
; NumVGPRsForWavesPerEU: 12
; NamedBarCnt: 0
; Occupancy: 16
; WaveLimiterHint : 0
; COMPUTE_PGM_RSRC2:SCRATCH_EN: 0
; COMPUTE_PGM_RSRC2:USER_SGPR: 2
; COMPUTE_PGM_RSRC2:TRAP_HANDLER: 0
; COMPUTE_PGM_RSRC2:TGID_X_EN: 1
; COMPUTE_PGM_RSRC2:TGID_Y_EN: 1
; COMPUTE_PGM_RSRC2:TGID_Z_EN: 1
; COMPUTE_PGM_RSRC2:TIDIG_COMP_CNT: 0
	.section	.text._ZL33flash_attn_stream_k_fixup_generalILi128ELi2ELi8EEvPfPK15HIP_vector_typeIfLj2EEiiiiS1_IjLj3EES5_S5_S5_,"axG",@progbits,_ZL33flash_attn_stream_k_fixup_generalILi128ELi2ELi8EEvPfPK15HIP_vector_typeIfLj2EEiiiiS1_IjLj3EES5_S5_S5_,comdat
	.globl	_ZL33flash_attn_stream_k_fixup_generalILi128ELi2ELi8EEvPfPK15HIP_vector_typeIfLj2EEiiiiS1_IjLj3EES5_S5_S5_ ; -- Begin function _ZL33flash_attn_stream_k_fixup_generalILi128ELi2ELi8EEvPfPK15HIP_vector_typeIfLj2EEiiiiS1_IjLj3EES5_S5_S5_
	.p2align	8
	.type	_ZL33flash_attn_stream_k_fixup_generalILi128ELi2ELi8EEvPfPK15HIP_vector_typeIfLj2EEiiiiS1_IjLj3EES5_S5_S5_,@function
_ZL33flash_attn_stream_k_fixup_generalILi128ELi2ELi8EEvPfPK15HIP_vector_typeIfLj2EEiiiiS1_IjLj3EES5_S5_S5_: ; @_ZL33flash_attn_stream_k_fixup_generalILi128ELi2ELi8EEvPfPK15HIP_vector_typeIfLj2EEiiiiS1_IjLj3EES5_S5_S5_
; %bb.0:
	s_clause 0x1
	s_load_b128 s[4:7], s[0:1], 0x10
	s_load_b32 s16, s[0:1], 0x50
	s_bfe_u32 s2, ttmp6, 0x4000c
	s_and_b32 s3, ttmp6, 15
	s_add_co_i32 s2, s2, 1
	s_getreg_b32 s15, hwreg(HW_REG_IB_STS2, 6, 4)
	s_mul_i32 s2, ttmp9, s2
	s_mov_b32 s17, 0
	s_add_co_i32 s3, s3, s2
	s_cmp_eq_u32 s15, 0
	s_cselect_b32 s2, ttmp9, s3
	s_delay_alu instid0(SALU_CYCLE_1) | instskip(SKIP_3) | instid1(SALU_CYCLE_1)
	s_ashr_i32 s3, s2, 31
	s_wait_kmcnt 0x0
	s_ashr_i32 s19, s7, 31
	s_mov_b32 s18, s7
	s_mul_u64 s[8:9], s[18:19], s[2:3]
	s_delay_alu instid0(SALU_CYCLE_1) | instskip(NEXT) | instid1(SALU_CYCLE_1)
	s_and_b64 s[10:11], s[8:9], 0xffffffff00000000
	s_cmp_lg_u64 s[10:11], 0
	s_cbranch_scc0 .LBB15_21
; %bb.1:
	s_add_nc_u64 s[10:11], s[16:17], 0
	s_mov_b32 s23, s17
	s_xor_b64 s[10:11], s[10:11], 0
	s_mov_b32 s27, s17
	s_cvt_f32_u32 s3, s10
	s_cvt_f32_u32 s7, s11
	s_sub_nc_u64 s[20:21], 0, s[10:11]
	s_delay_alu instid0(SALU_CYCLE_2) | instskip(NEXT) | instid1(SALU_CYCLE_3)
	s_fmamk_f32 s3, s7, 0x4f800000, s3
	v_s_rcp_f32 s3, s3
	s_delay_alu instid0(TRANS32_DEP_1) | instskip(NEXT) | instid1(SALU_CYCLE_3)
	s_mul_f32 s3, s3, 0x5f7ffffc
	s_mul_f32 s7, s3, 0x2f800000
	s_delay_alu instid0(SALU_CYCLE_3) | instskip(NEXT) | instid1(SALU_CYCLE_3)
	s_trunc_f32 s7, s7
	s_fmamk_f32 s3, s7, 0xcf800000, s3
	s_cvt_u32_f32 s13, s7
	s_delay_alu instid0(SALU_CYCLE_2) | instskip(NEXT) | instid1(SALU_CYCLE_3)
	s_cvt_u32_f32 s12, s3
	s_mul_u64 s[24:25], s[20:21], s[12:13]
	s_delay_alu instid0(SALU_CYCLE_1)
	s_mul_hi_u32 s29, s12, s25
	s_mul_i32 s28, s12, s25
	s_mul_hi_u32 s22, s12, s24
	s_mul_i32 s7, s13, s24
	s_add_nc_u64 s[22:23], s[22:23], s[28:29]
	s_mul_hi_u32 s3, s13, s24
	s_mul_hi_u32 s14, s13, s25
	s_add_co_u32 s7, s22, s7
	s_add_co_ci_u32 s26, s23, s3
	s_mul_i32 s24, s13, s25
	s_add_co_ci_u32 s25, s14, 0
	s_delay_alu instid0(SALU_CYCLE_1) | instskip(SKIP_3) | instid1(SALU_CYCLE_1)
	s_add_nc_u64 s[22:23], s[26:27], s[24:25]
	s_mov_b32 s25, s17
	s_add_co_u32 s12, s12, s22
	s_cselect_b32 s3, -1, 0
	s_cmp_lg_u32 s3, 0
	s_add_co_ci_u32 s13, s13, s23
	s_mov_b32 s23, s17
	s_mul_u64 s[20:21], s[20:21], s[12:13]
	s_delay_alu instid0(SALU_CYCLE_1)
	s_mul_hi_u32 s27, s12, s21
	s_mul_i32 s26, s12, s21
	s_mul_hi_u32 s22, s12, s20
	s_mul_i32 s7, s13, s20
	s_add_nc_u64 s[22:23], s[22:23], s[26:27]
	s_mul_hi_u32 s3, s13, s20
	s_mul_hi_u32 s14, s13, s21
	s_add_co_u32 s7, s22, s7
	s_add_co_ci_u32 s24, s23, s3
	s_mul_i32 s20, s13, s21
	s_add_co_ci_u32 s21, s14, 0
	s_mov_b32 s23, s17
	s_add_nc_u64 s[20:21], s[24:25], s[20:21]
	s_delay_alu instid0(SALU_CYCLE_1) | instskip(SKIP_1) | instid1(SALU_CYCLE_1)
	s_add_co_u32 s3, s12, s20
	s_cselect_b32 s7, -1, 0
	s_cmp_lg_u32 s7, 0
	s_add_co_ci_u32 s7, s13, s21
	s_ashr_i32 s12, s9, 31
	s_delay_alu instid0(SALU_CYCLE_1) | instskip(NEXT) | instid1(SALU_CYCLE_1)
	s_mov_b32 s13, s12
	s_add_nc_u64 s[20:21], s[8:9], s[12:13]
	s_delay_alu instid0(SALU_CYCLE_1) | instskip(NEXT) | instid1(SALU_CYCLE_1)
	s_xor_b64 s[20:21], s[20:21], s[12:13]
	s_mul_hi_u32 s27, s20, s7
	s_mul_i32 s26, s20, s7
	s_mul_hi_u32 s22, s20, s3
	s_mul_hi_u32 s14, s21, s3
	s_mul_i32 s3, s21, s3
	s_add_nc_u64 s[22:23], s[22:23], s[26:27]
	s_mul_hi_u32 s9, s21, s7
	s_add_co_u32 s3, s22, s3
	s_add_co_ci_u32 s24, s23, s14
	s_mul_i32 s26, s21, s7
	s_add_co_ci_u32 s27, s9, 0
	s_delay_alu instid0(SALU_CYCLE_1) | instskip(NEXT) | instid1(SALU_CYCLE_1)
	s_add_nc_u64 s[22:23], s[24:25], s[26:27]
	s_and_b64 s[24:25], s[22:23], 0xffffffff00000000
	s_delay_alu instid0(SALU_CYCLE_1) | instskip(NEXT) | instid1(SALU_CYCLE_1)
	s_or_b32 s24, s24, s22
	s_mul_u64 s[22:23], s[10:11], s[24:25]
	s_add_nc_u64 s[26:27], s[24:25], 1
	s_sub_co_u32 s3, s20, s22
	s_cselect_b32 s7, -1, 0
	s_sub_co_i32 s9, s21, s23
	s_cmp_lg_u32 s7, 0
	s_add_nc_u64 s[28:29], s[24:25], 2
	s_sub_co_ci_u32 s9, s9, s11
	s_sub_co_u32 s14, s3, s10
	s_cselect_b32 s20, -1, 0
	s_delay_alu instid0(SALU_CYCLE_1) | instskip(SKIP_1) | instid1(SALU_CYCLE_1)
	s_cmp_lg_u32 s20, 0
	s_sub_co_ci_u32 s9, s9, 0
	s_cmp_ge_u32 s9, s11
	s_cselect_b32 s20, -1, 0
	s_cmp_ge_u32 s14, s10
	s_cselect_b32 s14, -1, 0
	s_cmp_eq_u32 s9, s11
	s_cselect_b32 s9, s14, s20
	s_delay_alu instid0(SALU_CYCLE_1) | instskip(SKIP_4) | instid1(SALU_CYCLE_1)
	s_cmp_lg_u32 s9, 0
	s_cselect_b32 s9, s28, s26
	s_cselect_b32 s14, s29, s27
	s_cmp_lg_u32 s7, 0
	s_sub_co_ci_u32 s7, s21, s23
	s_cmp_ge_u32 s7, s11
	s_cselect_b32 s20, -1, 0
	s_cmp_ge_u32 s3, s10
	s_cselect_b32 s3, -1, 0
	s_cmp_eq_u32 s7, s11
	s_cselect_b32 s3, s3, s20
	s_delay_alu instid0(SALU_CYCLE_1) | instskip(SKIP_4) | instid1(SALU_CYCLE_1)
	s_cmp_lg_u32 s3, 0
	s_mov_b32 s3, s17
	s_cselect_b32 s11, s14, s25
	s_cselect_b32 s10, s9, s24
	s_xor_b64 s[12:13], s[12:13], 0
	s_xor_b64 s[10:11], s[10:11], s[12:13]
	s_delay_alu instid0(SALU_CYCLE_1)
	s_sub_nc_u64 s[20:21], s[10:11], s[12:13]
	s_and_not1_b32 vcc_lo, exec_lo, s3
	s_cbranch_vccnz .LBB15_3
.LBB15_2:
	v_cvt_f32_u32_e32 v1, s16
	s_sub_co_i32 s7, 0, s16
	s_mov_b32 s21, 0
	s_delay_alu instid0(VALU_DEP_1) | instskip(SKIP_1) | instid1(TRANS32_DEP_1)
	v_rcp_iflag_f32_e32 v1, v1
	v_nop
	v_mul_f32_e32 v1, 0x4f7ffffe, v1
	s_delay_alu instid0(VALU_DEP_1) | instskip(NEXT) | instid1(VALU_DEP_1)
	v_cvt_u32_f32_e32 v1, v1
	v_readfirstlane_b32 s3, v1
	s_mul_i32 s7, s7, s3
	s_delay_alu instid0(SALU_CYCLE_1) | instskip(NEXT) | instid1(SALU_CYCLE_1)
	s_mul_hi_u32 s7, s3, s7
	s_add_co_i32 s3, s3, s7
	s_delay_alu instid0(SALU_CYCLE_1) | instskip(NEXT) | instid1(SALU_CYCLE_1)
	s_mul_hi_u32 s3, s8, s3
	s_mul_i32 s7, s3, s16
	s_delay_alu instid0(SALU_CYCLE_1)
	s_sub_co_i32 s7, s8, s7
	s_add_co_i32 s8, s3, 1
	s_sub_co_i32 s9, s7, s16
	s_cmp_ge_u32 s7, s16
	s_cselect_b32 s3, s8, s3
	s_cselect_b32 s7, s9, s7
	s_add_co_i32 s8, s3, 1
	s_cmp_ge_u32 s7, s16
	s_cselect_b32 s20, s8, s3
.LBB15_3:
	s_add_co_i32 s8, s2, 1
	s_delay_alu instid0(SALU_CYCLE_1) | instskip(NEXT) | instid1(SALU_CYCLE_1)
	s_ashr_i32 s9, s8, 31
	s_mul_u64 s[8:9], s[18:19], s[8:9]
	s_delay_alu instid0(SALU_CYCLE_1) | instskip(NEXT) | instid1(SALU_CYCLE_1)
	s_and_b64 s[10:11], s[8:9], 0xffffffff00000000
	s_cmp_lg_u64 s[10:11], 0
	s_cbranch_scc0 .LBB15_22
; %bb.4:
	s_add_nc_u64 s[10:11], s[16:17], 0
	s_delay_alu instid0(SALU_CYCLE_1) | instskip(SKIP_4) | instid1(SALU_CYCLE_2)
	s_xor_b64 s[12:13], s[10:11], 0
	s_mov_b32 s11, 0
	s_cvt_f32_u32 s3, s12
	s_cvt_f32_u32 s7, s13
	s_sub_nc_u64 s[24:25], 0, s[12:13]
	s_fmamk_f32 s3, s7, 0x4f800000, s3
	s_delay_alu instid0(SALU_CYCLE_3) | instskip(NEXT) | instid1(TRANS32_DEP_1)
	v_s_rcp_f32 s3, s3
	s_mul_f32 s3, s3, 0x5f7ffffc
	s_delay_alu instid0(SALU_CYCLE_3) | instskip(NEXT) | instid1(SALU_CYCLE_3)
	s_mul_f32 s7, s3, 0x2f800000
	s_trunc_f32 s7, s7
	s_delay_alu instid0(SALU_CYCLE_3) | instskip(SKIP_1) | instid1(SALU_CYCLE_2)
	s_fmamk_f32 s3, s7, 0xcf800000, s3
	s_cvt_u32_f32 s23, s7
	s_cvt_u32_f32 s22, s3
	s_delay_alu instid0(SALU_CYCLE_3) | instskip(NEXT) | instid1(SALU_CYCLE_1)
	s_mul_u64 s[26:27], s[24:25], s[22:23]
	s_mul_hi_u32 s29, s22, s27
	s_mul_i32 s28, s22, s27
	s_mul_hi_u32 s10, s22, s26
	s_mul_i32 s7, s23, s26
	s_add_nc_u64 s[28:29], s[10:11], s[28:29]
	s_mul_hi_u32 s3, s23, s26
	s_mul_hi_u32 s14, s23, s27
	s_add_co_u32 s7, s28, s7
	s_add_co_ci_u32 s10, s29, s3
	s_mul_i32 s26, s23, s27
	s_add_co_ci_u32 s27, s14, 0
	s_delay_alu instid0(SALU_CYCLE_1) | instskip(NEXT) | instid1(SALU_CYCLE_1)
	s_add_nc_u64 s[26:27], s[10:11], s[26:27]
	s_add_co_u32 s22, s22, s26
	s_cselect_b32 s3, -1, 0
	s_delay_alu instid0(SALU_CYCLE_1) | instskip(SKIP_1) | instid1(SALU_CYCLE_1)
	s_cmp_lg_u32 s3, 0
	s_add_co_ci_u32 s23, s23, s27
	s_mul_u64 s[24:25], s[24:25], s[22:23]
	s_delay_alu instid0(SALU_CYCLE_1)
	s_mul_hi_u32 s27, s22, s25
	s_mul_i32 s26, s22, s25
	s_mul_hi_u32 s10, s22, s24
	s_mul_i32 s7, s23, s24
	s_add_nc_u64 s[26:27], s[10:11], s[26:27]
	s_mul_hi_u32 s3, s23, s24
	s_mul_hi_u32 s14, s23, s25
	s_add_co_u32 s7, s26, s7
	s_add_co_ci_u32 s10, s27, s3
	s_mul_i32 s24, s23, s25
	s_add_co_ci_u32 s25, s14, 0
	s_delay_alu instid0(SALU_CYCLE_1) | instskip(NEXT) | instid1(SALU_CYCLE_1)
	s_add_nc_u64 s[24:25], s[10:11], s[24:25]
	s_add_co_u32 s3, s22, s24
	s_cselect_b32 s7, -1, 0
	s_delay_alu instid0(SALU_CYCLE_1) | instskip(SKIP_2) | instid1(SALU_CYCLE_1)
	s_cmp_lg_u32 s7, 0
	s_add_co_ci_u32 s7, s23, s25
	s_ashr_i32 s22, s9, 31
	s_mov_b32 s23, s22
	s_delay_alu instid0(SALU_CYCLE_1) | instskip(NEXT) | instid1(SALU_CYCLE_1)
	s_add_nc_u64 s[24:25], s[8:9], s[22:23]
	s_xor_b64 s[24:25], s[24:25], s[22:23]
	s_delay_alu instid0(SALU_CYCLE_1)
	s_mul_hi_u32 s27, s24, s7
	s_mul_i32 s26, s24, s7
	s_mul_hi_u32 s10, s24, s3
	s_mul_hi_u32 s14, s25, s3
	s_mul_i32 s3, s25, s3
	s_add_nc_u64 s[26:27], s[10:11], s[26:27]
	s_mul_hi_u32 s9, s25, s7
	s_add_co_u32 s3, s26, s3
	s_add_co_ci_u32 s10, s27, s14
	s_mul_i32 s28, s25, s7
	s_add_co_ci_u32 s29, s9, 0
	s_delay_alu instid0(SALU_CYCLE_1) | instskip(NEXT) | instid1(SALU_CYCLE_1)
	s_add_nc_u64 s[26:27], s[10:11], s[28:29]
	s_and_b64 s[28:29], s[26:27], 0xffffffff00000000
	s_delay_alu instid0(SALU_CYCLE_1) | instskip(NEXT) | instid1(SALU_CYCLE_1)
	s_or_b32 s28, s28, s26
	s_mul_u64 s[26:27], s[12:13], s[28:29]
	s_add_nc_u64 s[30:31], s[28:29], 1
	s_sub_co_u32 s3, s24, s26
	s_cselect_b32 s7, -1, 0
	s_sub_co_i32 s9, s25, s27
	s_cmp_lg_u32 s7, 0
	s_add_nc_u64 s[34:35], s[28:29], 2
	s_sub_co_ci_u32 s9, s9, s13
	s_sub_co_u32 s10, s3, s12
	s_cselect_b32 s14, -1, 0
	s_delay_alu instid0(SALU_CYCLE_1) | instskip(SKIP_1) | instid1(SALU_CYCLE_1)
	s_cmp_lg_u32 s14, 0
	s_sub_co_ci_u32 s9, s9, 0
	s_cmp_ge_u32 s9, s13
	s_cselect_b32 s14, -1, 0
	s_cmp_ge_u32 s10, s12
	s_cselect_b32 s10, -1, 0
	s_cmp_eq_u32 s9, s13
	s_cselect_b32 s9, s10, s14
	s_delay_alu instid0(SALU_CYCLE_1) | instskip(SKIP_4) | instid1(SALU_CYCLE_1)
	s_cmp_lg_u32 s9, 0
	s_cselect_b32 s9, s34, s30
	s_cselect_b32 s10, s35, s31
	s_cmp_lg_u32 s7, 0
	s_sub_co_ci_u32 s7, s25, s27
	s_cmp_ge_u32 s7, s13
	s_cselect_b32 s14, -1, 0
	s_cmp_ge_u32 s3, s12
	s_cselect_b32 s3, -1, 0
	s_cmp_eq_u32 s7, s13
	s_cselect_b32 s3, s3, s14
	s_delay_alu instid0(SALU_CYCLE_1) | instskip(SKIP_3) | instid1(SALU_CYCLE_1)
	s_cmp_lg_u32 s3, 0
	s_cselect_b32 s13, s10, s29
	s_cselect_b32 s12, s9, s28
	s_xor_b64 s[22:23], s[22:23], 0
	s_xor_b64 s[12:13], s[12:13], s[22:23]
	s_delay_alu instid0(SALU_CYCLE_1)
	s_sub_nc_u64 s[24:25], s[12:13], s[22:23]
	s_load_b96 s[12:14], s[0:1], 0x44
	s_cbranch_execnz .LBB15_6
.LBB15_5:
	v_cvt_f32_u32_e32 v1, s16
	s_sub_co_i32 s7, 0, s16
	s_delay_alu instid0(VALU_DEP_1) | instskip(SKIP_1) | instid1(TRANS32_DEP_1)
	v_rcp_iflag_f32_e32 v1, v1
	v_nop
	v_mul_f32_e32 v1, 0x4f7ffffe, v1
	s_delay_alu instid0(VALU_DEP_1) | instskip(NEXT) | instid1(VALU_DEP_1)
	v_cvt_u32_f32_e32 v1, v1
	v_readfirstlane_b32 s3, v1
	s_mul_i32 s7, s7, s3
	s_delay_alu instid0(SALU_CYCLE_1) | instskip(NEXT) | instid1(SALU_CYCLE_1)
	s_mul_hi_u32 s7, s3, s7
	s_add_co_i32 s3, s3, s7
	s_delay_alu instid0(SALU_CYCLE_1) | instskip(NEXT) | instid1(SALU_CYCLE_1)
	s_mul_hi_u32 s3, s8, s3
	s_mul_i32 s7, s3, s16
	s_delay_alu instid0(SALU_CYCLE_1)
	s_sub_co_i32 s7, s8, s7
	s_add_co_i32 s8, s3, 1
	s_sub_co_i32 s9, s7, s16
	s_cmp_ge_u32 s7, s16
	s_cselect_b32 s3, s8, s3
	s_cselect_b32 s7, s9, s7
	s_add_co_i32 s8, s3, 1
	s_cmp_ge_u32 s7, s16
	s_cselect_b32 s24, s8, s3
.LBB15_6:
	s_delay_alu instid0(SALU_CYCLE_1)
	s_cmp_eq_u32 s20, s24
	s_mov_b64 s[8:9], 0xffffffff
	s_cselect_b32 s3, -1, 0
	s_and_b64 s[8:9], s[20:21], s[8:9]
	s_mov_b32 s23, 0
	s_wait_kmcnt 0x0
	s_mov_b32 s22, s12
	s_mov_b32 s25, s23
	s_mul_u64 s[10:11], s[8:9], s[22:23]
	s_delay_alu instid0(SALU_CYCLE_1) | instskip(SKIP_2) | instid1(SALU_CYCLE_1)
	s_add_co_i32 s7, s11, s20
	s_mul_u64 s[10:11], s[24:25], s[22:23]
	s_lshr_b32 s12, s7, s13
	s_mul_i32 s7, s12, s14
	s_delay_alu instid0(SALU_CYCLE_1) | instskip(SKIP_2) | instid1(SALU_CYCLE_1)
	s_cmp_eq_u32 s7, s20
	s_cselect_b32 s7, -1, 0
	s_add_co_i32 s10, s11, s24
	s_lshr_b32 s10, s10, s13
	s_delay_alu instid0(SALU_CYCLE_1)
	s_cmp_eq_u32 s12, s10
	s_mul_i32 s10, s10, s14
	s_cselect_b32 s11, -1, 0
	s_cmp_lg_u32 s10, s24
	s_cselect_b32 s10, -1, 0
	s_or_b32 s3, s3, s7
	s_and_b32 s10, s11, s10
	s_delay_alu instid0(SALU_CYCLE_1) | instskip(NEXT) | instid1(SALU_CYCLE_1)
	s_or_b32 s3, s3, s10
	s_and_b32 vcc_lo, exec_lo, s3
	s_cbranch_vccnz .LBB15_24
; %bb.7:
	s_load_b256 s[24:31], s[0:1], 0x20
	s_bfe_u32 s7, ttmp6, 0x40014
	s_bfe_u32 s33, ttmp6, 0x40010
	s_lshr_b32 s3, ttmp7, 16
	s_add_co_i32 s7, s7, 1
	s_and_b32 s21, ttmp7, 0xffff
	s_add_co_i32 s33, s33, 1
	s_bfe_u32 s10, ttmp6, 0x40008
	s_mul_i32 s7, s3, s7
	s_bfe_u32 s34, ttmp6, 0x40004
	s_mul_i32 s33, s21, s33
	s_mov_b32 s11, s23
	s_add_co_i32 s35, s10, s7
	s_add_co_i32 s34, s34, s33
	s_cmp_eq_u32 s15, 0
	s_cselect_b32 s7, s21, s34
	s_cselect_b32 s3, s3, s35
	s_wait_kmcnt 0x0
	s_mov_b32 s10, s24
	s_delay_alu instid0(SALU_CYCLE_1) | instskip(NEXT) | instid1(SALU_CYCLE_1)
	s_mul_u64 s[8:9], s[8:9], s[10:11]
	s_add_co_i32 s8, s9, s20
	s_load_b32 s9, s[0:1], 0x40
	s_lshr_b32 s8, s8, s25
	s_delay_alu instid0(SALU_CYCLE_1) | instskip(NEXT) | instid1(SALU_CYCLE_1)
	s_mul_i32 s10, s8, s26
	s_sub_co_i32 s10, s20, s10
	s_delay_alu instid0(SALU_CYCLE_1) | instskip(NEXT) | instid1(SALU_CYCLE_1)
	s_mul_hi_u32 s11, s10, s27
	s_add_co_i32 s11, s10, s11
	s_delay_alu instid0(SALU_CYCLE_1) | instskip(NEXT) | instid1(SALU_CYCLE_1)
	s_lshr_b32 s15, s11, s28
	s_mul_i32 s11, s15, s29
	s_delay_alu instid0(SALU_CYCLE_1) | instskip(NEXT) | instid1(SALU_CYCLE_1)
	s_sub_co_i32 s10, s10, s11
	s_mul_hi_u32 s11, s10, s30
	s_delay_alu instid0(SALU_CYCLE_1) | instskip(NEXT) | instid1(SALU_CYCLE_1)
	s_add_co_i32 s11, s10, s11
	s_lshr_b32 s26, s11, s31
	s_mov_b32 s11, s23
	s_wait_kmcnt 0x0
	s_mul_i32 s9, s26, s9
	s_delay_alu instid0(SALU_CYCLE_1) | instskip(NEXT) | instid1(SALU_CYCLE_1)
	s_sub_co_i32 s10, s10, s9
	s_mul_u64 s[24:25], s[10:11], s[22:23]
	s_lshl_b32 s24, s26, 3
	s_add_co_i32 s9, s10, s25
	s_delay_alu instid0(SALU_CYCLE_1) | instskip(NEXT) | instid1(SALU_CYCLE_1)
	s_lshr_b32 s21, s9, s13
	s_lshl_b32 s9, s21, 1
	s_delay_alu instid0(SALU_CYCLE_1) | instskip(NEXT) | instid1(SALU_CYCLE_1)
	s_add_co_i32 s9, s9, s7
	s_cmp_lt_i32 s9, s4
	s_cselect_b32 s9, -1, 0
	s_add_co_i32 s10, s24, s3
	s_delay_alu instid0(SALU_CYCLE_1) | instskip(SKIP_1) | instid1(SALU_CYCLE_1)
	s_cmp_lt_i32 s10, s6
	s_cselect_b32 s10, -1, 0
	s_and_b32 s9, s9, s10
	s_delay_alu instid0(SALU_CYCLE_1)
	s_and_not1_b32 vcc_lo, exec_lo, s9
	s_cbranch_vccnz .LBB15_24
; %bb.8:
	s_mul_i32 s4, s8, s4
	s_load_b128 s[8:11], s[0:1], 0x0
	s_wait_xcnt 0x0
	s_add_co_i32 s0, s4, s7
	s_mul_i32 s15, s15, s6
	s_mul_i32 s0, s0, s5
	;; [unrolled: 1-line block ×3, first 2 shown]
	s_add_co_i32 s0, s0, s3
	s_lshl_b32 s1, s1, 8
	s_add_co_i32 s0, s0, s15
	s_lshl_b32 s15, s7, 3
	s_add_co_i32 s0, s0, s24
	s_add_co_i32 s15, s15, s3
	s_lshl_b32 s0, s0, 7
	v_lshl_or_b32 v6, s15, 7, v0
	s_add_co_i32 s1, s1, s0
	v_cvt_f32_u32_e32 v4, s16
	v_or_b32_e32 v2, s1, v0
	s_add_nc_u64 s[0:1], s[16:17], 0
	s_lshl_b32 s24, s16, 6
	s_xor_b64 s[6:7], s[0:1], 0
	s_lshl_b32 s0, s2, 4
	s_cvt_f32_u32 s3, s6
	s_add_co_i32 s0, s15, s0
	s_cvt_f32_u32 s4, s7
	s_ashr_i32 s1, s0, 31
	v_rcp_iflag_f32_e32 v4, v4
	s_lshl_b64 s[0:1], s[0:1], 3
	s_fmamk_f32 s3, s4, 0x4f800000, s3
	s_wait_kmcnt 0x0
	s_add_nc_u64 s[0:1], s[10:11], s[0:1]
	s_mov_b32 s25, 0
	s_load_b64 s[28:29], s[0:1], 0x0
	v_s_rcp_f32 s3, s3
	s_wait_xcnt 0x0
	s_lshl_b64 s[0:1], s[24:25], 2
	s_add_co_i32 s36, s2, -1
	s_add_nc_u64 s[26:27], s[10:11], s[0:1]
	s_sub_nc_u64 s[34:35], 0, s[6:7]
	v_mul_f32_e32 v4, 0x4f7ffffe, v4
	s_delay_alu instid0(TRANS32_DEP_1) | instskip(NEXT) | instid1(VALU_DEP_1)
	s_mul_f32 s3, s3, 0x5f7ffffc
	v_cvt_u32_f32_e32 v7, v4
	s_delay_alu instid0(SALU_CYCLE_2) | instskip(NEXT) | instid1(SALU_CYCLE_3)
	s_mul_f32 s4, s3, 0x2f800000
	s_trunc_f32 s4, s4
	s_wait_kmcnt 0x0
	v_mov_b32_e32 v0, s29
	global_load_b32 v1, v2, s[8:9] scale_offset
	v_ashrrev_i32_e32 v3, 31, v2
	s_fmamk_f32 s0, s4, 0xcf800000, s3
	s_cvt_u32_f32 s31, s4
	s_wait_xcnt 0x0
	s_delay_alu instid0(VALU_DEP_1)
	v_lshl_add_u64 v[2:3], v[2:3], 2, s[8:9]
	s_cvt_u32_f32 s30, s0
	s_mov_b64 s[8:9], 0xffffffff
.LBB15_9:                               ; =>This Inner Loop Header: Depth=1
	s_ashr_i32 s37, s36, 31
                                        ; implicit-def: $sgpr40_sgpr41
	s_delay_alu instid0(SALU_CYCLE_1) | instskip(NEXT) | instid1(SALU_CYCLE_1)
	s_mul_u64 s[0:1], s[36:37], s[18:19]
	s_and_b64 s[2:3], s[0:1], 0xffffffff00000000
	s_delay_alu instid0(SALU_CYCLE_1)
	s_cmp_lg_u64 s[2:3], 0
	s_mov_b32 s2, -1
	s_cbranch_scc0 .LBB15_11
; %bb.10:                               ;   in Loop: Header=BB15_9 Depth=1
	s_mul_u64 s[2:3], s[34:35], s[30:31]
	s_delay_alu instid0(SALU_CYCLE_1)
	s_mul_hi_u32 s5, s30, s3
	s_mul_i32 s4, s30, s3
	s_mul_hi_u32 s24, s30, s2
	s_mul_hi_u32 s17, s31, s2
	s_add_nc_u64 s[4:5], s[24:25], s[4:5]
	s_mul_i32 s2, s31, s2
	s_mul_hi_u32 s21, s31, s3
	s_add_co_u32 s2, s4, s2
	s_add_co_ci_u32 s24, s5, s17
	s_add_co_ci_u32 s5, s21, 0
	s_mul_i32 s4, s31, s3
	s_delay_alu instid0(SALU_CYCLE_1) | instskip(NEXT) | instid1(SALU_CYCLE_1)
	s_add_nc_u64 s[2:3], s[24:25], s[4:5]
	s_add_co_u32 s2, s30, s2
	s_cselect_b32 s4, -1, 0
	s_delay_alu instid0(SALU_CYCLE_1) | instskip(SKIP_1) | instid1(SALU_CYCLE_1)
	s_cmp_lg_u32 s4, 0
	s_add_co_ci_u32 s3, s31, s3
	s_mul_u64 s[4:5], s[34:35], s[2:3]
	s_delay_alu instid0(SALU_CYCLE_1)
	s_mul_hi_u32 s39, s2, s5
	s_mul_i32 s38, s2, s5
	s_mul_hi_u32 s24, s2, s4
	s_mul_hi_u32 s17, s3, s4
	s_mul_i32 s4, s3, s4
	s_add_nc_u64 s[38:39], s[24:25], s[38:39]
	s_mul_hi_u32 s21, s3, s5
	s_add_co_u32 s4, s38, s4
	s_add_co_ci_u32 s24, s39, s17
	s_mul_i32 s4, s3, s5
	s_add_co_ci_u32 s5, s21, 0
	s_delay_alu instid0(SALU_CYCLE_1) | instskip(NEXT) | instid1(SALU_CYCLE_1)
	s_add_nc_u64 s[4:5], s[24:25], s[4:5]
	s_add_co_u32 s17, s2, s4
	s_cselect_b32 s2, -1, 0
	s_delay_alu instid0(SALU_CYCLE_1) | instskip(SKIP_2) | instid1(SALU_CYCLE_1)
	s_cmp_lg_u32 s2, 0
	s_add_co_ci_u32 s21, s3, s5
	s_ashr_i32 s2, s1, 31
	s_mov_b32 s3, s2
	s_delay_alu instid0(SALU_CYCLE_1) | instskip(NEXT) | instid1(SALU_CYCLE_1)
	s_add_nc_u64 s[4:5], s[0:1], s[2:3]
	s_xor_b64 s[4:5], s[4:5], s[2:3]
	s_delay_alu instid0(SALU_CYCLE_1)
	s_mul_hi_u32 s39, s4, s21
	s_mul_i32 s38, s4, s21
	s_mul_hi_u32 s24, s4, s17
	s_mul_hi_u32 s29, s5, s17
	s_mul_i32 s17, s5, s17
	s_add_nc_u64 s[38:39], s[24:25], s[38:39]
	s_mul_hi_u32 s1, s5, s21
	s_add_co_u32 s17, s38, s17
	s_add_co_ci_u32 s24, s39, s29
	s_mul_i32 s40, s5, s21
	s_add_co_ci_u32 s41, s1, 0
	s_delay_alu instid0(SALU_CYCLE_1) | instskip(NEXT) | instid1(SALU_CYCLE_1)
	s_add_nc_u64 s[38:39], s[24:25], s[40:41]
	s_and_b64 s[40:41], s[38:39], 0xffffffff00000000
	s_delay_alu instid0(SALU_CYCLE_1) | instskip(NEXT) | instid1(SALU_CYCLE_1)
	s_or_b32 s40, s40, s38
	s_mul_u64 s[38:39], s[6:7], s[40:41]
	s_add_nc_u64 s[42:43], s[40:41], 1
	s_sub_co_u32 s1, s4, s38
	s_cselect_b32 s4, -1, 0
	s_sub_co_i32 s17, s5, s39
	s_cmp_lg_u32 s4, 0
	s_add_nc_u64 s[44:45], s[40:41], 2
	s_sub_co_ci_u32 s17, s17, s7
	s_sub_co_u32 s21, s1, s6
	s_cselect_b32 s24, -1, 0
	s_delay_alu instid0(SALU_CYCLE_1) | instskip(SKIP_1) | instid1(SALU_CYCLE_1)
	s_cmp_lg_u32 s24, 0
	s_sub_co_ci_u32 s17, s17, 0
	s_cmp_ge_u32 s17, s7
	s_cselect_b32 s24, -1, 0
	s_cmp_ge_u32 s21, s6
	s_cselect_b32 s21, -1, 0
	s_cmp_eq_u32 s17, s7
	s_cselect_b32 s17, s21, s24
	s_delay_alu instid0(SALU_CYCLE_1) | instskip(SKIP_4) | instid1(SALU_CYCLE_1)
	s_cmp_lg_u32 s17, 0
	s_cselect_b32 s17, s44, s42
	s_cselect_b32 s21, s45, s43
	s_cmp_lg_u32 s4, 0
	s_sub_co_ci_u32 s4, s5, s39
	s_cmp_ge_u32 s4, s7
	s_cselect_b32 s5, -1, 0
	s_cmp_ge_u32 s1, s6
	s_cselect_b32 s1, -1, 0
	s_cmp_eq_u32 s4, s7
	s_cselect_b32 s1, s1, s5
	s_delay_alu instid0(SALU_CYCLE_1) | instskip(SKIP_3) | instid1(SALU_CYCLE_1)
	s_cmp_lg_u32 s1, 0
	s_cselect_b32 s5, s21, s41
	s_cselect_b32 s4, s17, s40
	s_xor_b64 s[2:3], s[2:3], 0
	s_xor_b64 s[4:5], s[4:5], s[2:3]
	s_delay_alu instid0(SALU_CYCLE_1)
	s_sub_nc_u64 s[40:41], s[4:5], s[2:3]
	s_mov_b32 s2, 0
.LBB15_11:                              ;   in Loop: Header=BB15_9 Depth=1
	s_delay_alu instid0(SALU_CYCLE_1)
	s_and_not1_b32 vcc_lo, exec_lo, s2
	s_cbranch_vccnz .LBB15_13
; %bb.12:                               ;   in Loop: Header=BB15_9 Depth=1
	v_readfirstlane_b32 s1, v7
	s_sub_co_i32 s2, 0, s16
	s_delay_alu instid0(SALU_CYCLE_1) | instskip(NEXT) | instid1(SALU_CYCLE_1)
	s_mul_i32 s2, s2, s1
	s_mul_hi_u32 s2, s1, s2
	s_delay_alu instid0(SALU_CYCLE_1) | instskip(NEXT) | instid1(SALU_CYCLE_1)
	s_add_co_i32 s1, s1, s2
	s_mul_hi_u32 s1, s0, s1
	s_delay_alu instid0(SALU_CYCLE_1) | instskip(NEXT) | instid1(SALU_CYCLE_1)
	s_mul_i32 s2, s1, s16
	s_sub_co_i32 s0, s0, s2
	s_add_co_i32 s2, s1, 1
	s_sub_co_i32 s3, s0, s16
	s_cmp_ge_u32 s0, s16
	s_cselect_b32 s1, s2, s1
	s_cselect_b32 s0, s3, s0
	s_add_co_i32 s2, s1, 1
	s_cmp_ge_u32 s0, s16
	s_cselect_b32 s24, s2, s1
	s_delay_alu instid0(SALU_CYCLE_1)
	s_mov_b64 s[40:41], s[24:25]
.LBB15_13:                              ;   in Loop: Header=BB15_9 Depth=1
	s_delay_alu instid0(SALU_CYCLE_1)
	s_cmp_lg_u32 s20, s40
	s_mov_b32 s0, -1
                                        ; implicit-def: $vgpr4_vgpr5
                                        ; implicit-def: $sgpr24
                                        ; implicit-def: $sgpr17
                                        ; implicit-def: $sgpr21
                                        ; implicit-def: $sgpr29
	s_cbranch_scc0 .LBB15_18
; %bb.14:                               ;   in Loop: Header=BB15_9 Depth=1
	s_add_co_i32 s0, s36, s16
	v_max_num_f32_e64 v4, s28, s28
	s_lshl_b32 s0, s0, 4
	s_mov_b32 s29, s20
	s_add_co_i32 s0, s0, s15
	s_load_b64 s[38:39], s[10:11], s0 offset:0x0 scale_offset
	s_wait_xcnt 0x0
	v_readfirstlane_b32 s0, v4
	s_wait_kmcnt 0x0
	v_max_num_f32_e64 v5, s38, s38
	s_delay_alu instid0(VALU_DEP_1) | instskip(SKIP_1) | instid1(SALU_CYCLE_3)
	v_readfirstlane_b32 s1, v5
	s_max_num_f32 s17, s0, s1
	s_sub_f32 s33, s28, s17
	s_sub_f32 s37, s38, s17
	s_delay_alu instid0(SALU_CYCLE_2)
	s_cmp_nlt_f32 s33, 0xc2ce8ed0
	s_cselect_b32 s1, -1, 0
	s_cmp_ngt_f32 s33, 0x42b17218
	s_cselect_b32 s2, -1, 0
	s_cmp_ge_f32 s33, 0xc1a00000
	s_cselect_b32 s0, -1, 0
	s_cmp_nlt_f32 s37, 0xc2ce8ed0
	s_cselect_b32 s3, -1, 0
	s_cmp_ngt_f32 s37, 0x42b17218
	s_cselect_b32 s4, -1, 0
	s_cmp_ge_f32 s37, 0xc1a00000
	s_cselect_b32 s5, -1, 0
	s_and_b64 s[42:43], s[40:41], s[8:9]
	s_delay_alu instid0(SALU_CYCLE_1) | instskip(NEXT) | instid1(SALU_CYCLE_1)
	s_mul_u64 s[42:43], s[42:43], s[22:23]
	s_add_co_i32 s21, s43, s40
	s_delay_alu instid0(SALU_CYCLE_1) | instskip(NEXT) | instid1(SALU_CYCLE_1)
	s_lshr_b32 s21, s21, s13
	s_mul_i32 s24, s21, s14
	s_delay_alu instid0(SALU_CYCLE_1) | instskip(SKIP_3) | instid1(SALU_CYCLE_1)
	s_cmp_eq_u32 s24, s40
	s_cselect_b32 s24, -1, 0
	s_cmp_lt_u32 s21, s12
	s_cselect_b32 s21, -1, 0
	s_or_b32 s21, s21, s24
	s_mov_b32 s24, -1
	s_and_b32 vcc_lo, exec_lo, s21
	s_mov_b32 s21, s36
	s_cbranch_vccnz .LBB15_16
; %bb.15:                               ;   in Loop: Header=BB15_9 Depth=1
	s_add_co_i32 s21, s36, -1
	s_mov_b32 s24, 0
	s_mov_b32 s29, s40
.LBB15_16:                              ;   in Loop: Header=BB15_9 Depth=1
	v_lshl_add_u32 v4, s36, 11, v6
	s_mul_f32 s40, s33, 0x3fb8aa3b
	s_mul_f32 s38, s37, 0x3fb8aa3b
	s_delay_alu instid0(SALU_CYCLE_2)
	s_xor_b32 s42, s40, 0x80000000
	global_load_b32 v5, v4, s[26:27] scale_offset
	s_fmamk_f32 s42, s33, 0x3fb8aa3b, s42
	s_rndne_f32 s44, s40
	s_xor_b32 s41, s38, 0x80000000
	s_rndne_f32 s43, s38
	s_fmamk_f32 s33, s33, 0x32a5705f, s42
	s_sub_f32 s40, s40, s44
	s_fmamk_f32 s41, s37, 0x3fb8aa3b, s41
	s_sub_f32 s38, s38, s43
	s_delay_alu instid0(SALU_CYCLE_1) | instskip(NEXT) | instid1(SALU_CYCLE_1)
	s_add_f32 s33, s40, s33
	s_fmamk_f32 s37, s37, 0x32a5705f, s41
	s_cvt_i32_f32 s40, s44
	s_delay_alu instid0(SALU_CYCLE_1) | instskip(NEXT) | instid1(SALU_CYCLE_1)
	v_s_exp_f32 s33, s33
	s_add_f32 s37, s38, s37
	s_cvt_i32_f32 s38, s43
	s_delay_alu instid0(SALU_CYCLE_2) | instskip(NEXT) | instid1(TRANS32_DEP_2)
	v_s_exp_f32 s37, s37
	v_ldexp_f32 v8, s33, s40
	s_wait_xcnt 0x0
	s_delay_alu instid0(TRANS32_DEP_1) | instskip(NEXT) | instid1(VALU_DEP_2)
	v_ldexp_f32 v4, s37, s38
	v_cndmask_b32_e64 v8, 0, v8, s1
	s_delay_alu instid0(VALU_DEP_1) | instskip(NEXT) | instid1(VALU_DEP_1)
	v_cndmask_b32_e64 v9, 0x7f800000, v8, s2
	v_dual_cndmask_b32 v4, 0, v4, s3 :: v_dual_cndmask_b32 v10, 0, v9, s0
	s_delay_alu instid0(VALU_DEP_1) | instskip(NEXT) | instid1(VALU_DEP_1)
	v_cndmask_b32_e64 v4, 0x7f800000, v4, s4
	v_dual_cndmask_b32 v8, 0, v4, s5 :: v_dual_mov_b32 v4, s39
	s_wait_loadcnt 0x0
	s_delay_alu instid0(VALU_DEP_1) | instskip(NEXT) | instid1(VALU_DEP_1)
	v_pk_mul_f32 v[4:5], v[4:5], v[8:9] op_sel_hi:[1,0]
	v_pk_fma_f32 v[4:5], v[0:1], v[10:11], v[4:5] op_sel_hi:[1,0,1]
	s_cbranch_execz .LBB15_19
.LBB15_17:                              ;   in Loop: Header=BB15_9 Depth=1
	s_and_not1_b32 vcc_lo, exec_lo, s24
	s_cbranch_vccnz .LBB15_20
	s_branch .LBB15_23
.LBB15_18:                              ;   in Loop: Header=BB15_9 Depth=1
	s_and_not1_b32 vcc_lo, exec_lo, s0
	s_cbranch_vccnz .LBB15_17
.LBB15_19:                              ;   in Loop: Header=BB15_9 Depth=1
	s_wait_loadcnt 0x0
	v_mov_b64_e32 v[4:5], v[0:1]
	s_add_co_i32 s21, s36, -1
	s_mov_b32 s29, s20
	s_mov_b32 s17, s28
	s_cbranch_execz .LBB15_23
.LBB15_20:                              ;   in Loop: Header=BB15_9 Depth=1
	s_wait_loadcnt 0x0
	s_delay_alu instid0(VALU_DEP_1)
	v_mov_b64_e32 v[0:1], v[4:5]
	s_mov_b32 s20, s29
	s_mov_b32 s36, s21
	;; [unrolled: 1-line block ×3, first 2 shown]
	s_branch .LBB15_9
.LBB15_21:
                                        ; implicit-def: $sgpr20_sgpr21
	s_branch .LBB15_2
.LBB15_22:
                                        ; implicit-def: $sgpr24_sgpr25
	s_load_b96 s[12:14], s[0:1], 0x44
	s_branch .LBB15_5
.LBB15_23:
	s_delay_alu instid0(VALU_DEP_1) | instskip(SKIP_1) | instid1(VALU_DEP_1)
	v_div_scale_f32 v0, null, v4, v4, v5
	s_wait_loadcnt 0x0
	v_rcp_f32_e32 v1, v0
	v_nop
	s_delay_alu instid0(TRANS32_DEP_1) | instskip(NEXT) | instid1(VALU_DEP_1)
	v_fma_f32 v6, -v0, v1, 1.0
	v_fmac_f32_e32 v1, v6, v1
	v_div_scale_f32 v6, vcc_lo, v5, v4, v5
	s_delay_alu instid0(VALU_DEP_1) | instskip(NEXT) | instid1(VALU_DEP_1)
	v_mul_f32_e32 v7, v6, v1
	v_fma_f32 v8, -v0, v7, v6
	s_delay_alu instid0(VALU_DEP_1) | instskip(NEXT) | instid1(VALU_DEP_1)
	v_fmac_f32_e32 v7, v8, v1
	v_fma_f32 v0, -v0, v7, v6
	s_delay_alu instid0(VALU_DEP_1) | instskip(NEXT) | instid1(VALU_DEP_1)
	v_div_fmas_f32 v0, v0, v1, v7
	v_div_fixup_f32 v0, v0, v4, v5
	global_store_b32 v[2:3], v0, off
.LBB15_24:
	s_endpgm
	.section	.rodata,"a",@progbits
	.p2align	6, 0x0
	.amdhsa_kernel _ZL33flash_attn_stream_k_fixup_generalILi128ELi2ELi8EEvPfPK15HIP_vector_typeIfLj2EEiiiiS1_IjLj3EES5_S5_S5_
		.amdhsa_group_segment_fixed_size 0
		.amdhsa_private_segment_fixed_size 0
		.amdhsa_kernarg_size 336
		.amdhsa_user_sgpr_count 2
		.amdhsa_user_sgpr_dispatch_ptr 0
		.amdhsa_user_sgpr_queue_ptr 0
		.amdhsa_user_sgpr_kernarg_segment_ptr 1
		.amdhsa_user_sgpr_dispatch_id 0
		.amdhsa_user_sgpr_kernarg_preload_length 0
		.amdhsa_user_sgpr_kernarg_preload_offset 0
		.amdhsa_user_sgpr_private_segment_size 0
		.amdhsa_wavefront_size32 1
		.amdhsa_uses_dynamic_stack 0
		.amdhsa_enable_private_segment 0
		.amdhsa_system_sgpr_workgroup_id_x 1
		.amdhsa_system_sgpr_workgroup_id_y 1
		.amdhsa_system_sgpr_workgroup_id_z 1
		.amdhsa_system_sgpr_workgroup_info 0
		.amdhsa_system_vgpr_workitem_id 0
		.amdhsa_next_free_vgpr 12
		.amdhsa_next_free_sgpr 46
		.amdhsa_named_barrier_count 0
		.amdhsa_reserve_vcc 1
		.amdhsa_float_round_mode_32 0
		.amdhsa_float_round_mode_16_64 0
		.amdhsa_float_denorm_mode_32 3
		.amdhsa_float_denorm_mode_16_64 3
		.amdhsa_fp16_overflow 0
		.amdhsa_memory_ordered 1
		.amdhsa_forward_progress 1
		.amdhsa_inst_pref_size 27
		.amdhsa_round_robin_scheduling 0
		.amdhsa_exception_fp_ieee_invalid_op 0
		.amdhsa_exception_fp_denorm_src 0
		.amdhsa_exception_fp_ieee_div_zero 0
		.amdhsa_exception_fp_ieee_overflow 0
		.amdhsa_exception_fp_ieee_underflow 0
		.amdhsa_exception_fp_ieee_inexact 0
		.amdhsa_exception_int_div_zero 0
	.end_amdhsa_kernel
	.section	.text._ZL33flash_attn_stream_k_fixup_generalILi128ELi2ELi8EEvPfPK15HIP_vector_typeIfLj2EEiiiiS1_IjLj3EES5_S5_S5_,"axG",@progbits,_ZL33flash_attn_stream_k_fixup_generalILi128ELi2ELi8EEvPfPK15HIP_vector_typeIfLj2EEiiiiS1_IjLj3EES5_S5_S5_,comdat
.Lfunc_end15:
	.size	_ZL33flash_attn_stream_k_fixup_generalILi128ELi2ELi8EEvPfPK15HIP_vector_typeIfLj2EEiiiiS1_IjLj3EES5_S5_S5_, .Lfunc_end15-_ZL33flash_attn_stream_k_fixup_generalILi128ELi2ELi8EEvPfPK15HIP_vector_typeIfLj2EEiiiiS1_IjLj3EES5_S5_S5_
                                        ; -- End function
	.set _ZL33flash_attn_stream_k_fixup_generalILi128ELi2ELi8EEvPfPK15HIP_vector_typeIfLj2EEiiiiS1_IjLj3EES5_S5_S5_.num_vgpr, 12
	.set _ZL33flash_attn_stream_k_fixup_generalILi128ELi2ELi8EEvPfPK15HIP_vector_typeIfLj2EEiiiiS1_IjLj3EES5_S5_S5_.num_agpr, 0
	.set _ZL33flash_attn_stream_k_fixup_generalILi128ELi2ELi8EEvPfPK15HIP_vector_typeIfLj2EEiiiiS1_IjLj3EES5_S5_S5_.numbered_sgpr, 46
	.set _ZL33flash_attn_stream_k_fixup_generalILi128ELi2ELi8EEvPfPK15HIP_vector_typeIfLj2EEiiiiS1_IjLj3EES5_S5_S5_.num_named_barrier, 0
	.set _ZL33flash_attn_stream_k_fixup_generalILi128ELi2ELi8EEvPfPK15HIP_vector_typeIfLj2EEiiiiS1_IjLj3EES5_S5_S5_.private_seg_size, 0
	.set _ZL33flash_attn_stream_k_fixup_generalILi128ELi2ELi8EEvPfPK15HIP_vector_typeIfLj2EEiiiiS1_IjLj3EES5_S5_S5_.uses_vcc, 1
	.set _ZL33flash_attn_stream_k_fixup_generalILi128ELi2ELi8EEvPfPK15HIP_vector_typeIfLj2EEiiiiS1_IjLj3EES5_S5_S5_.uses_flat_scratch, 0
	.set _ZL33flash_attn_stream_k_fixup_generalILi128ELi2ELi8EEvPfPK15HIP_vector_typeIfLj2EEiiiiS1_IjLj3EES5_S5_S5_.has_dyn_sized_stack, 0
	.set _ZL33flash_attn_stream_k_fixup_generalILi128ELi2ELi8EEvPfPK15HIP_vector_typeIfLj2EEiiiiS1_IjLj3EES5_S5_S5_.has_recursion, 0
	.set _ZL33flash_attn_stream_k_fixup_generalILi128ELi2ELi8EEvPfPK15HIP_vector_typeIfLj2EEiiiiS1_IjLj3EES5_S5_S5_.has_indirect_call, 0
	.section	.AMDGPU.csdata,"",@progbits
; Kernel info:
; codeLenInByte = 3360
; TotalNumSgprs: 48
; NumVgprs: 12
; ScratchSize: 0
; MemoryBound: 0
; FloatMode: 240
; IeeeMode: 1
; LDSByteSize: 0 bytes/workgroup (compile time only)
; SGPRBlocks: 0
; VGPRBlocks: 0
; NumSGPRsForWavesPerEU: 48
; NumVGPRsForWavesPerEU: 12
; NamedBarCnt: 0
; Occupancy: 16
; WaveLimiterHint : 0
; COMPUTE_PGM_RSRC2:SCRATCH_EN: 0
; COMPUTE_PGM_RSRC2:USER_SGPR: 2
; COMPUTE_PGM_RSRC2:TRAP_HANDLER: 0
; COMPUTE_PGM_RSRC2:TGID_X_EN: 1
; COMPUTE_PGM_RSRC2:TGID_Y_EN: 1
; COMPUTE_PGM_RSRC2:TGID_Z_EN: 1
; COMPUTE_PGM_RSRC2:TIDIG_COMP_CNT: 0
	.section	.text._ZL15flash_attn_tileILi192ELi128ELi1ELi8ELb0EEvPKcS1_S1_S1_S1_PKiPfP15HIP_vector_typeIfLj2EEffffjfiS5_IjLj3EEiiiiiiiiiiiliiliiiiil,"axG",@progbits,_ZL15flash_attn_tileILi192ELi128ELi1ELi8ELb0EEvPKcS1_S1_S1_S1_PKiPfP15HIP_vector_typeIfLj2EEffffjfiS5_IjLj3EEiiiiiiiiiiiliiliiiiil,comdat
	.globl	_ZL15flash_attn_tileILi192ELi128ELi1ELi8ELb0EEvPKcS1_S1_S1_S1_PKiPfP15HIP_vector_typeIfLj2EEffffjfiS5_IjLj3EEiiiiiiiiiiiliiliiiiil ; -- Begin function _ZL15flash_attn_tileILi192ELi128ELi1ELi8ELb0EEvPKcS1_S1_S1_S1_PKiPfP15HIP_vector_typeIfLj2EEffffjfiS5_IjLj3EEiiiiiiiiiiiliiliiiiil
	.p2align	8
	.type	_ZL15flash_attn_tileILi192ELi128ELi1ELi8ELb0EEvPKcS1_S1_S1_S1_PKiPfP15HIP_vector_typeIfLj2EEffffjfiS5_IjLj3EEiiiiiiiiiiiliiliiiiil,@function
_ZL15flash_attn_tileILi192ELi128ELi1ELi8ELb0EEvPKcS1_S1_S1_S1_PKiPfP15HIP_vector_typeIfLj2EEffffjfiS5_IjLj3EEiiiiiiiiiiiliiliiiiil: ; @_ZL15flash_attn_tileILi192ELi128ELi1ELi8ELb0EEvPKcS1_S1_S1_S1_PKiPfP15HIP_vector_typeIfLj2EEffffjfiS5_IjLj3EEiiiiiiiiiiiliiliiiiil
; %bb.0:
	s_clause 0x1
	s_load_b128 s[20:23], s[0:1], 0x5c
	s_load_b64 s[30:31], s[0:1], 0x80
	s_bfe_u32 s5, ttmp6, 0x40014
	s_lshr_b32 s4, ttmp7, 16
	s_add_co_i32 s5, s5, 1
	s_bfe_u32 s6, ttmp6, 0x40008
	s_mul_i32 s5, s4, s5
	s_getreg_b32 s24, hwreg(HW_REG_IB_STS2, 6, 4)
	s_add_co_i32 s6, s6, s5
	s_load_b64 s[36:37], s[0:1], 0xb8
	s_mov_b64 s[34:35], 0
	s_wait_kmcnt 0x0
	s_ashr_i32 s2, s23, 31
	s_delay_alu instid0(SALU_CYCLE_1) | instskip(NEXT) | instid1(SALU_CYCLE_1)
	s_lshr_b32 s2, s2, 29
	s_add_co_i32 s2, s23, s2
	s_delay_alu instid0(SALU_CYCLE_1) | instskip(NEXT) | instid1(SALU_CYCLE_1)
	s_ashr_i32 s2, s2, 3
	s_cvt_f32_u32 s3, s2
	s_sub_co_i32 s7, 0, s2
	s_delay_alu instid0(SALU_CYCLE_2) | instskip(SKIP_1) | instid1(TRANS32_DEP_1)
	v_rcp_iflag_f32_e32 v1, s3
	v_nop
	v_readfirstlane_b32 s3, v1
	s_mul_f32 s3, s3, 0x4f7ffffe
	s_delay_alu instid0(SALU_CYCLE_3) | instskip(NEXT) | instid1(SALU_CYCLE_3)
	s_cvt_u32_f32 s3, s3
	s_mul_i32 s7, s7, s3
	s_delay_alu instid0(SALU_CYCLE_1) | instskip(NEXT) | instid1(SALU_CYCLE_1)
	s_mul_hi_u32 s7, s3, s7
	s_add_co_i32 s3, s3, s7
	s_cmp_eq_u32 s24, 0
	s_cselect_b32 s4, s4, s6
	s_delay_alu instid0(SALU_CYCLE_1) | instskip(NEXT) | instid1(SALU_CYCLE_1)
	s_mul_hi_u32 s3, s4, s3
	s_mul_i32 s5, s3, s2
	s_add_co_i32 s6, s3, 1
	s_sub_co_i32 s5, s4, s5
	s_delay_alu instid0(SALU_CYCLE_1)
	s_sub_co_i32 s7, s5, s2
	s_cmp_ge_u32 s5, s2
	s_cselect_b32 s3, s6, s3
	s_cselect_b32 s5, s7, s5
	s_add_co_i32 s6, s3, 1
	s_cmp_ge_u32 s5, s2
	s_cselect_b32 s28, s6, s3
	s_abs_i32 s2, s31
	s_abs_i32 s7, s23
	s_cvt_f32_u32 s3, s2
	s_sub_co_i32 s5, 0, s2
	s_lshl_b32 s4, s4, 3
	s_mul_i32 s6, s28, s23
	v_rcp_iflag_f32_e32 v1, s3
	s_sub_co_i32 s33, s4, s6
	s_xor_b32 s4, s23, s31
	s_delay_alu instid0(SALU_CYCLE_1) | instskip(SKIP_1) | instid1(TRANS32_DEP_1)
	s_ashr_i32 s25, s4, 31
	v_nop
	v_readfirstlane_b32 s3, v1
	s_mul_f32 s3, s3, 0x4f7ffffe
	s_delay_alu instid0(SALU_CYCLE_3) | instskip(NEXT) | instid1(SALU_CYCLE_3)
	s_cvt_u32_f32 s3, s3
	s_mul_i32 s5, s5, s3
	s_delay_alu instid0(SALU_CYCLE_1) | instskip(NEXT) | instid1(SALU_CYCLE_1)
	s_mul_hi_u32 s5, s3, s5
	s_add_co_i32 s3, s3, s5
	s_delay_alu instid0(SALU_CYCLE_1) | instskip(NEXT) | instid1(SALU_CYCLE_1)
	s_mul_hi_u32 s3, s7, s3
	s_mul_i32 s5, s3, s2
	s_delay_alu instid0(SALU_CYCLE_1)
	s_sub_co_i32 s4, s7, s5
	s_add_co_i32 s5, s3, 1
	s_sub_co_i32 s6, s4, s2
	s_cmp_ge_u32 s4, s2
	s_cselect_b32 s3, s5, s3
	s_cselect_b32 s4, s6, s4
	s_add_co_i32 s5, s3, 1
	s_cmp_ge_u32 s4, s2
	s_cselect_b32 s2, s5, s3
	s_load_b512 s[4:19], s[0:1], 0x0
	s_xor_b32 s2, s2, s25
	s_mov_b32 s3, 0
	s_sub_co_i32 s29, s2, s25
	s_delay_alu instid0(SALU_CYCLE_1) | instskip(NEXT) | instid1(SALU_CYCLE_1)
	s_abs_i32 s38, s29
	s_cvt_f32_u32 s2, s38
	s_delay_alu instid0(SALU_CYCLE_3) | instskip(SKIP_1) | instid1(TRANS32_DEP_1)
	v_rcp_iflag_f32_e32 v1, s2
	v_nop
	v_readfirstlane_b32 s2, v1
	s_wait_kmcnt 0x0
	s_cmp_eq_u64 s[10:11], 0
	s_cbranch_scc1 .LBB16_2
; %bb.1:
	s_abs_i32 s25, s36
	s_abs_i32 s31, s28
	s_cvt_f32_u32 s26, s25
	s_sub_co_i32 s27, 0, s25
	s_delay_alu instid0(SALU_CYCLE_2) | instskip(SKIP_1) | instid1(TRANS32_DEP_1)
	v_rcp_iflag_f32_e32 v1, s26
	v_nop
	v_readfirstlane_b32 s26, v1
	s_mul_f32 s26, s26, 0x4f7ffffe
	s_delay_alu instid0(SALU_CYCLE_3) | instskip(NEXT) | instid1(SALU_CYCLE_3)
	s_cvt_u32_f32 s26, s26
	s_mul_i32 s27, s27, s26
	s_delay_alu instid0(SALU_CYCLE_1) | instskip(NEXT) | instid1(SALU_CYCLE_1)
	s_mul_hi_u32 s27, s26, s27
	s_add_co_i32 s26, s26, s27
	s_delay_alu instid0(SALU_CYCLE_1) | instskip(SKIP_2) | instid1(SALU_CYCLE_1)
	s_mul_hi_u32 s34, s31, s26
	s_load_b64 s[26:27], s[0:1], 0xc8
	s_mul_i32 s34, s34, s25
	s_sub_co_i32 s31, s31, s34
	s_ashr_i32 s34, s28, 31
	s_sub_co_i32 s35, s31, s25
	s_cmp_ge_u32 s31, s25
	s_cselect_b32 s31, s35, s31
	s_delay_alu instid0(SALU_CYCLE_1) | instskip(SKIP_2) | instid1(SALU_CYCLE_1)
	s_sub_co_i32 s35, s31, s25
	s_cmp_ge_u32 s31, s25
	s_cselect_b32 s25, s35, s31
	s_xor_b32 s25, s25, s34
	s_delay_alu instid0(SALU_CYCLE_1) | instskip(NEXT) | instid1(SALU_CYCLE_1)
	s_sub_co_i32 s34, s25, s34
	s_ashr_i32 s35, s34, 31
	s_wait_kmcnt 0x0
	s_mul_u64 s[26:27], s[26:27], s[34:35]
	s_delay_alu instid0(SALU_CYCLE_1)
	s_add_nc_u64 s[34:35], s[10:11], s[26:27]
.LBB16_2:
	s_bfe_u32 s10, ttmp6, 0x4000c
	v_dual_lshrrev_b32 v1, 10, v0 :: v_dual_mov_b32 v3, 0
	s_add_co_i32 s10, s10, 1
	s_and_b32 s11, ttmp6, 15
	s_mul_i32 s10, ttmp9, s10
	s_delay_alu instid0(VALU_DEP_1)
	v_bfe_u32 v1, v1, 2, 8
	s_add_co_i32 s11, s11, s10
	s_cmp_eq_u32 s24, 0
	v_bfe_u32 v6, v0, 10, 10
	s_cselect_b32 s25, ttmp9, s11
	s_load_b96 s[40:42], s[0:1], 0x70
	v_dual_mov_b32 v21, v3 :: v_dual_add_nc_u32 v38, s25, v1
	s_delay_alu instid0(VALU_DEP_2) | instskip(NEXT) | instid1(VALU_DEP_2)
	v_lshlrev_b32_e32 v7, 1, v6
	v_mul_hi_u32 v1, s20, v38
	s_delay_alu instid0(VALU_DEP_1) | instskip(SKIP_3) | instid1(VALU_DEP_1)
	v_dual_add_nc_u32 v1, v38, v1 :: v_dual_bitop2_b32 v20, 6, v7 bitop3:0x40
	s_wait_kmcnt 0x0
	s_mul_i32 s20, s33, s41
	s_ashr_i32 s11, s41, 31
	v_lshrrev_b32_e32 v1, s21, v1
	s_mov_b32 s10, s41
	s_ashr_i32 s41, s40, 31
	s_lshr_b64 s[10:11], s[10:11], 2
	s_lshr_b64 s[26:27], s[40:41], 2
	v_mul_lo_u32 v1, v1, s22
	s_ashr_i32 s21, s20, 31
	v_mul_u64_e32 v[8:9], s[10:11], v[20:21]
	v_and_b32_e32 v21, 0x3ff, v0
	s_delay_alu instid0(VALU_DEP_1) | instskip(SKIP_2) | instid1(VALU_DEP_1)
	v_lshlrev_b32_e32 v0, 4, v21
	v_cmp_gt_u32_e32 vcc_lo, 16, v21
	v_dual_mov_b32 v1, v3 :: v_dual_sub_nc_u32 v2, v38, v1
	v_mul_u64_e32 v[4:5], s[26:27], v[2:3]
	s_mul_i32 s26, s28, s42
	s_delay_alu instid0(SALU_CYCLE_1) | instskip(NEXT) | instid1(SALU_CYCLE_1)
	s_ashr_i32 s27, s26, 31
	s_add_nc_u64 s[4:5], s[4:5], s[26:27]
	s_delay_alu instid0(SALU_CYCLE_1)
	s_add_nc_u64 s[4:5], s[4:5], s[20:21]
	s_delay_alu instid0(VALU_DEP_1) | instid1(SALU_CYCLE_1)
	v_lshl_add_u64 v[4:5], v[4:5], 2, s[4:5]
	s_load_b32 s4, s[0:1], 0x40
	s_delay_alu instid0(VALU_DEP_1) | instskip(NEXT) | instid1(VALU_DEP_1)
	v_add_nc_u64_e32 v[0:1], v[4:5], v[0:1]
	v_lshl_add_u64 v[4:5], v[8:9], 2, v[0:1]
	global_load_b128 v[8:11], v[4:5], off
	s_wait_kmcnt 0x0
	s_mov_b32 s5, s4
	s_wait_loadcnt 0x0
	v_fma_mixlo_f16 v12, s4, v8, 0
	v_mov_b32_e32 v8, v11
	v_fma_mixlo_f16 v10, s4, v10, 0
	s_delay_alu instid0(VALU_DEP_3) | instskip(NEXT) | instid1(VALU_DEP_3)
	v_and_b32_e32 v11, 0xffff, v12
	v_pk_mul_f32 v[8:9], s[4:5], v[8:9] op_sel_hi:[0,1]
	s_delay_alu instid0(VALU_DEP_3) | instskip(NEXT) | instid1(VALU_DEP_2)
	v_and_b32_e32 v10, 0xffff, v10
	v_cvt_pk_f16_f32 v8, v8, v9
	s_delay_alu instid0(VALU_DEP_1) | instskip(SKIP_1) | instid1(VALU_DEP_2)
	v_dual_lshlrev_b32 v40, 3, v21 :: v_dual_lshlrev_b32 v13, 16, v8
	v_and_b32_e32 v12, 0xffff0000, v8
	v_add_nc_u32_e32 v9, 0x1200, v40
	v_mul_u32_u24_e32 v8, 0x300, v6
	s_delay_alu instid0(VALU_DEP_3) | instskip(NEXT) | instid1(VALU_DEP_3)
	v_or_b32_e32 v12, v12, v11
	v_mad_u32_u24 v14, 0x300, v6, v9
	v_or3_b32 v11, v13, v10, 0
	s_delay_alu instid0(VALU_DEP_3)
	v_or3_b32 v10, 0, 0, v12
	ds_store_b64 v14, v[10:11]
	s_and_saveexec_b32 s20, vcc_lo
	s_cbranch_execz .LBB16_4
; %bb.3:
	global_load_b128 v[10:13], v[4:5], off offset:512
	s_wait_xcnt 0x0
	v_mov_b64_e32 v[4:5], s[4:5]
	s_wait_loadcnt 0x0
	v_fma_mixlo_f16 v14, s4, v10, 0
	v_mov_b32_e32 v10, v13
	s_delay_alu instid0(VALU_DEP_1) | instskip(NEXT) | instid1(VALU_DEP_3)
	v_pk_mul_f32 v[4:5], v[4:5], v[10:11]
	v_and_b32_e32 v10, 0xffff, v14
	s_delay_alu instid0(VALU_DEP_2) | instskip(SKIP_1) | instid1(VALU_DEP_2)
	v_cvt_pk_f16_f32 v4, v4, v5
	v_fma_mixlo_f16 v5, s4, v12, 0
	v_and_b32_e32 v11, 0xffff0000, v4
	s_delay_alu instid0(VALU_DEP_2) | instskip(NEXT) | instid1(VALU_DEP_2)
	v_and_b32_e32 v5, 0xffff, v5
	v_dual_lshlrev_b32 v4, 16, v4 :: v_dual_bitop2_b32 v10, v11, v10 bitop3:0x54
	s_delay_alu instid0(VALU_DEP_1) | instskip(NEXT) | instid1(VALU_DEP_2)
	v_or3_b32 v5, v4, v5, 0
	v_or3_b32 v4, 0, 0, v10
	v_add_nc_u32_e32 v10, v9, v8
	ds_store_b64 v10, v[4:5] offset:256
.LBB16_4:
	s_or_b32 exec_lo, exec_lo, s20
	v_bitop3_b32 v4, v7, 7, 1 bitop3:0xc8
	v_mov_b32_e32 v5, v3
	s_delay_alu instid0(VALU_DEP_1) | instskip(NEXT) | instid1(VALU_DEP_1)
	v_mul_u64_e32 v[4:5], s[10:11], v[4:5]
	v_lshl_add_u64 v[0:1], v[4:5], 2, v[0:1]
	v_mov_b64_e32 v[4:5], s[4:5]
	global_load_b128 v[10:13], v[0:1], off
	s_wait_loadcnt 0x0
	v_fma_mixlo_f16 v3, s4, v10, 0
	v_mov_b32_e32 v10, v13
	s_delay_alu instid0(VALU_DEP_1) | instskip(NEXT) | instid1(VALU_DEP_3)
	v_pk_mul_f32 v[4:5], v[4:5], v[10:11]
	v_and_b32_e32 v10, 0xffff, v3
	s_delay_alu instid0(VALU_DEP_2) | instskip(SKIP_2) | instid1(VALU_DEP_3)
	v_cvt_pk_f16_f32 v4, v4, v5
	v_fma_mixlo_f16 v5, s4, v12, 0
	v_or_b32_e32 v3, 1, v7
	v_and_b32_e32 v11, 0xffff0000, v4
	s_delay_alu instid0(VALU_DEP_3) | instskip(NEXT) | instid1(VALU_DEP_2)
	v_and_b32_e32 v5, 0xffff, v5
	v_dual_lshlrev_b32 v4, 16, v4 :: v_dual_bitop2_b32 v10, v11, v10 bitop3:0x54
	s_delay_alu instid0(VALU_DEP_4) | instskip(NEXT) | instid1(VALU_DEP_2)
	v_mad_u32_u24 v11, 0x180, v3, v9
	v_or3_b32 v5, v4, v5, 0
	s_delay_alu instid0(VALU_DEP_3)
	v_or3_b32 v4, 0, 0, v10
	ds_store_b64 v11, v[4:5]
	s_and_saveexec_b32 s10, vcc_lo
	s_cbranch_execz .LBB16_6
; %bb.5:
	global_load_b128 v[10:13], v[0:1], off offset:512
	s_wait_xcnt 0x0
	v_mov_b64_e32 v[0:1], s[4:5]
	v_mul_u32_u24_e32 v3, 0x180, v3
	s_delay_alu instid0(VALU_DEP_1) | instskip(SKIP_3) | instid1(VALU_DEP_2)
	v_add_nc_u32_e32 v3, v9, v3
	s_wait_loadcnt 0x0
	v_fma_mixlo_f16 v4, s4, v10, 0
	v_mov_b32_e32 v10, v13
	v_and_b32_e32 v4, 0xffff, v4
	s_delay_alu instid0(VALU_DEP_2) | instskip(NEXT) | instid1(VALU_DEP_1)
	v_pk_mul_f32 v[0:1], v[0:1], v[10:11]
	v_cvt_pk_f16_f32 v0, v0, v1
	v_fma_mixlo_f16 v1, s4, v12, 0
	s_delay_alu instid0(VALU_DEP_2) | instskip(NEXT) | instid1(VALU_DEP_2)
	v_and_b32_e32 v5, 0xffff0000, v0
	v_and_b32_e32 v1, 0xffff, v1
	v_lshlrev_b32_e32 v0, 16, v0
	s_delay_alu instid0(VALU_DEP_3) | instskip(NEXT) | instid1(VALU_DEP_2)
	v_or_b32_e32 v4, v5, v4
	v_or3_b32 v1, v0, v1, 0
	s_delay_alu instid0(VALU_DEP_2)
	v_or3_b32 v0, 0, 0, v4
	ds_store_b64 v3, v[0:1] offset:256
.LBB16_6:
	s_or_b32 exec_lo, exec_lo, s10
	s_cmp_eq_u64 s[14:15], 0
	s_wait_dscnt 0x0
	s_barrier_signal -1
	s_barrier_wait -1
	s_cbranch_scc1 .LBB16_8
; %bb.7:
	s_load_b32 s4, s[0:1], 0xd0
	s_wait_kmcnt 0x0
	s_mul_i32 s4, s4, s28
	s_delay_alu instid0(SALU_CYCLE_1)
	s_add_co_i32 s4, s4, s25
	s_load_b32 s30, s[14:15], s4 offset:0x0 scale_offset
.LBB16_8:
	s_wait_xcnt 0x0
	s_bfe_u32 s4, ttmp6, 0x40010
	s_and_b32 s5, ttmp7, 0xffff
	s_add_co_i32 s4, s4, 1
	s_bfe_u32 s10, ttmp6, 0x40004
	s_mul_i32 s4, s5, s4
	v_mbcnt_lo_u32_b32 v41, -1, 0
	s_add_co_i32 s10, s10, s4
	s_cmp_eq_u32 s24, 0
	s_mov_b32 s4, 0
	s_cselect_b32 s31, s5, s10
	s_delay_alu instid0(SALU_CYCLE_1)
	s_lshl_b32 s10, s31, 5
	s_wait_kmcnt 0x0
	s_cmp_lt_i32 s10, s30
	s_cbranch_scc1 .LBB16_11
; %bb.9:
	v_mbcnt_lo_u32_b32 v0, -1, 0
	s_delay_alu instid0(VALU_DEP_1)
	v_dual_mov_b32 v42, 32 :: v_dual_bitop2_b32 v47, 16, v0 bitop3:0x14
	v_xor_b32_e32 v46, 8, v0
	v_xor_b32_e32 v45, 4, v0
	v_xor_b32_e32 v44, 2, v0
	v_dual_lshlrev_b32 v39, 2, v21 :: v_dual_bitop2_b32 v43, 1, v0 bitop3:0x14
	s_and_not1_b32 vcc_lo, exec_lo, s4
	s_cbranch_vccz .LBB16_12
; %bb.10:
	v_dual_mov_b32 v23, 0 :: v_dual_mov_b32 v8, 0
	v_dual_mov_b32 v37, 0xfeffffff :: v_dual_mov_b32 v36, 0xfeffffff
	s_delay_alu instid0(VALU_DEP_2)
	v_dual_mov_b32 v9, 0 :: v_dual_mov_b32 v22, v23
	v_dual_mov_b32 v7, 0 :: v_dual_mov_b32 v6, 0
	s_branch .LBB16_15
.LBB16_11:
                                        ; implicit-def: $vgpr0
                                        ; implicit-def: $vgpr42
                                        ; implicit-def: $vgpr47
                                        ; implicit-def: $vgpr46
                                        ; implicit-def: $vgpr45
                                        ; implicit-def: $vgpr44
                                        ; implicit-def: $vgpr43
	v_lshlrev_b32_e32 v39, 2, v21
.LBB16_12:
	s_clause 0x1
	s_load_b64 s[4:5], s[0:1], 0x8c
	s_load_b128 s[24:27], s[0:1], 0x98
	s_mul_f32 s2, s2, 0x4f7ffffe
	s_sub_co_i32 s11, 0, s38
	v_dual_lshrrev_b32 v0, 3, v21 :: v_dual_lshrrev_b32 v3, 4, v21
	s_delay_alu instid0(SALU_CYCLE_1) | instskip(SKIP_2) | instid1(VALU_DEP_1)
	s_cvt_u32_f32 s14, s2
	s_abs_i32 s2, s33
	s_mov_b32 s15, s3
	v_lshl_add_u32 v1, v6, 2, v0
	s_mul_i32 s11, s11, s14
	v_dual_mov_b32 v29, 0 :: v_dual_bitop2_b32 v0, 28, v39 bitop3:0x40
	s_mul_hi_u32 s11, s14, s11
	v_add_nc_u32_e32 v3, v3, v7
	s_add_co_i32 s14, s14, s11
	s_ashr_i32 s20, s33, 31
	s_mul_u64 s[14:15], s[2:3], s[14:15]
	s_ashr_i32 s21, s29, 31
	v_lshlrev_b32_e32 v5, 2, v0
	s_xor_b32 s21, s20, s21
	s_wait_kmcnt 0x0
	s_ashr_i32 s14, s26, 2
	s_ashr_i32 s20, s4, 2
	v_mul_lo_u32 v10, s14, v3
	s_load_b64 s[40:41], s[0:1], 0xa8
	v_mul_lo_u32 v24, s20, v1
	s_mul_i32 s3, s15, s38
	s_ashr_i32 s11, s37, 1
	s_sub_co_i32 s2, s2, s3
	s_ashr_i32 s29, s28, 31
	s_add_co_i32 s3, s15, 1
	s_sub_co_i32 s4, s2, s38
	v_and_b32_e32 v4, 60, v39
	s_cmp_ge_u32 s2, s38
	v_add_nc_u32_e32 v51, 0x1200, v8
	s_cselect_b32 s3, s3, s15
	v_lshl_add_u32 v8, s14, 3, v10
	s_cselect_b32 s2, s4, s2
	s_add_co_i32 s4, s3, 1
	v_mad_u32_u24 v48, 0x90, v1, v5
	v_lshl_add_u32 v26, s20, 4, v24
	v_ashrrev_i32_e32 v25, 31, v24
	v_lshlrev_b32_e32 v1, 2, v4
	s_cmp_ge_u32 s2, s38
	v_dual_ashrrev_i32 v11, 31, v10 :: v_dual_ashrrev_i32 v9, 31, v8
	s_cselect_b32 s2, s4, s3
	v_mad_u32 v53, v2, s11, v21
	s_xor_b32 s2, s2, s21
	v_ashrrev_i32_e32 v27, 31, v26
	v_lshl_or_b32 v52, v3, 8, v1
	v_lshl_add_u32 v54, v6, 7, 0x1e00
	s_sub_co_i32 s15, s2, s21
	s_mul_u64 s[2:3], s[24:25], s[28:29]
	v_lshlrev_b64_e32 v[30:31], 2, v[10:11]
	v_lshlrev_b64_e32 v[34:35], 2, v[8:9]
	s_mul_i32 s4, s15, s5
	s_add_nc_u64 s[2:3], s[6:7], s[2:3]
	s_wait_kmcnt 0x0
	s_mul_u64 s[6:7], s[40:41], s[28:29]
	s_mul_i32 s24, s15, s27
	v_dual_mov_b32 v42, 32 :: v_dual_add_nc_u32 v49, 0x900, v48
	v_mul_u32_u24_e32 v50, 0x90, v21
	v_dual_mov_b32 v8, v29 :: v_dual_add_nc_u32 v55, 0x800, v52
	v_dual_mov_b32 v36, 0xfeffffff :: v_dual_mov_b32 v33, v29
	v_dual_lshlrev_b32 v28, 2, v0 :: v_dual_bitop2_b32 v47, 16, v41 bitop3:0x14
	v_dual_add_nc_u32 v56, v54, v39 :: v_dual_bitop2_b32 v46, 8, v41 bitop3:0x14
	v_dual_lshlrev_b32 v32, 2, v4 :: v_dual_bitop2_b32 v45, 4, v41 bitop3:0x14
	v_dual_mov_b32 v7, v29 :: v_dual_bitop2_b32 v44, 2, v41 bitop3:0x14
	v_dual_mov_b32 v9, v29 :: v_dual_bitop2_b32 v43, 1, v41 bitop3:0x14
	v_dual_mov_b32 v22, v29 :: v_dual_add_nc_u32 v57, 0x800, v40
	v_dual_mov_b32 v6, v29 :: v_dual_mov_b32 v37, 0xfeffffff
	v_mov_b32_e32 v23, v29
	s_ashr_i32 s5, s4, 31
	s_add_nc_u64 s[8:9], s[8:9], s[6:7]
	s_ashr_i32 s25, s24, 31
	s_add_nc_u64 s[6:7], s[2:3], s[4:5]
	s_add_nc_u64 s[8:9], s[8:9], s[24:25]
	s_ashr_i32 s21, s20, 31
	s_ashr_i32 s15, s14, 31
	s_add_nc_u64 s[24:25], s[0:1], 0xd0
.LBB16_13:                              ; =>This Inner Loop Header: Depth=1
	v_cmp_gt_i32_e64 s2, 32, v47
	v_add_nc_u32_e32 v10, s10, v53
	s_ashr_i32 s11, s10, 31
	v_dual_mov_b32 v4, v37 :: v_dual_mov_b32 v5, v36
	v_cndmask_b32_e64 v11, v41, v47, s2
	v_cmp_gt_i32_e64 s2, 32, v46
	v_cmp_gt_i32_e32 vcc_lo, 32, v43
	v_dual_mov_b32 v12, 0 :: v_dual_mov_b32 v13, 0
	s_or_b32 s4, s10, 16
	v_cndmask_b32_e64 v18, v41, v46, s2
	v_cmp_gt_i32_e64 s2, 32, v45
	s_ashr_i32 s5, s4, 31
	v_dual_max_num_f32 v66, v5, v5 :: v_dual_max_num_f32 v67, v4, v4
	s_mul_u64 s[4:5], s[4:5], s[14:15]
	v_cndmask_b32_e64 v19, v41, v45, s2
	v_cmp_gt_i32_e64 s2, 32, v44
	s_lshl_b64 s[4:5], s[4:5], 2
	v_cndmask_b32_e32 v37, v41, v43, vcc_lo
	v_dual_lshlrev_b32 v11, 2, v11 :: v_dual_lshlrev_b32 v68, 2, v18
	v_cndmask_b32_e64 v36, v41, v44, s2
	s_mul_u64 s[2:3], s[10:11], s[20:21]
	v_lshlrev_b32_e32 v69, 2, v19
	s_lshl_b64 s[2:3], s[2:3], 2
	s_delay_alu instid0(SALU_CYCLE_1) | instskip(SKIP_4) | instid1(SALU_CYCLE_1)
	s_add_nc_u64 s[2:3], s[6:7], s[2:3]
	v_lshlrev_b32_e32 v36, 2, v36
	v_lshl_add_u64 v[0:1], v[24:25], 2, s[2:3]
	v_lshl_add_u64 v[2:3], v[26:27], 2, s[2:3]
	s_mul_u64 s[2:3], s[10:11], s[14:15]
	s_lshl_b64 s[2:3], s[2:3], 2
	s_delay_alu instid0(VALU_DEP_2) | instskip(NEXT) | instid1(VALU_DEP_2)
	v_add_nc_u64_e32 v[0:1], v[0:1], v[28:29]
	v_add_nc_u64_e32 v[2:3], v[2:3], v[28:29]
	s_add_nc_u64 s[2:3], s[8:9], s[2:3]
	s_clause 0x1
	global_load_b128 v[14:17], v[0:1], off
	global_load_b128 v[58:61], v[2:3], off
	s_wait_loadcnt 0x1
	ds_store_b128 v48, v[14:17]
	s_wait_loadcnt 0x0
	ds_store_b128 v49, v[58:61]
	s_wait_dscnt 0x0
	s_barrier_signal -1
	s_barrier_wait -1
	ds_load_b128 v[14:17], v50
	ds_load_b128 v[58:61], v51
	ds_load_b128 v[62:65], v51 offset:384
	s_wait_dscnt 0x1
	;;#ASMSTART
	v_dot2_f32_f16 v12, v14, v58, v12
	;;#ASMEND
	;;#ASMSTART
	v_dot2_f32_f16 v12, v15, v59, v12
	;;#ASMEND
	;;#ASMSTART
	v_dot2_f32_f16 v12, v16, v60, v12
	;;#ASMEND
	;;#ASMSTART
	v_dot2_f32_f16 v12, v17, v61, v12
	;;#ASMEND
	s_wait_dscnt 0x0
	;;#ASMSTART
	v_dot2_f32_f16 v13, v14, v62, v13
	;;#ASMEND
	;;#ASMSTART
	v_dot2_f32_f16 v13, v15, v63, v13
	;;#ASMEND
	;;#ASMSTART
	v_dot2_f32_f16 v13, v16, v64, v13
	;;#ASMEND
	;;#ASMSTART
	v_dot2_f32_f16 v13, v17, v65, v13
	;;#ASMEND
	ds_load_b128 v[14:17], v50 offset:16
	ds_load_b128 v[58:61], v51 offset:16
	ds_load_b128 v[62:65], v51 offset:400
	s_wait_dscnt 0x1
	;;#ASMSTART
	v_dot2_f32_f16 v12, v14, v58, v12
	;;#ASMEND
	;;#ASMSTART
	v_dot2_f32_f16 v12, v15, v59, v12
	;;#ASMEND
	;;#ASMSTART
	v_dot2_f32_f16 v12, v16, v60, v12
	;;#ASMEND
	;;#ASMSTART
	v_dot2_f32_f16 v12, v17, v61, v12
	;;#ASMEND
	s_wait_dscnt 0x0
	;;#ASMSTART
	v_dot2_f32_f16 v13, v14, v62, v13
	;;#ASMEND
	;;#ASMSTART
	v_dot2_f32_f16 v13, v15, v63, v13
	;;#ASMEND
	;;#ASMSTART
	v_dot2_f32_f16 v13, v16, v64, v13
	;;#ASMEND
	;;#ASMSTART
	v_dot2_f32_f16 v13, v17, v65, v13
	;;#ASMEND
	ds_load_b128 v[14:17], v50 offset:32
	ds_load_b128 v[58:61], v51 offset:32
	;; [unrolled: 29-line block ×7, first 2 shown]
	ds_load_b128 v[62:65], v51 offset:496
	s_wait_dscnt 0x1
	;;#ASMSTART
	v_dot2_f32_f16 v12, v14, v58, v12
	;;#ASMEND
	;;#ASMSTART
	v_dot2_f32_f16 v12, v15, v59, v12
	;;#ASMEND
	;; [unrolled: 3-line block ×4, first 2 shown]
	s_wait_dscnt 0x0
	;;#ASMSTART
	v_dot2_f32_f16 v13, v14, v62, v13
	;;#ASMEND
	;;#ASMSTART
	v_dot2_f32_f16 v13, v15, v63, v13
	;;#ASMEND
	;; [unrolled: 3-line block ×4, first 2 shown]
	s_barrier_signal -1
	s_barrier_wait -1
	s_clause 0x1
	global_load_b128 v[14:17], v[0:1], off offset:128
	global_load_b128 v[58:61], v[2:3], off offset:128
	s_wait_loadcnt 0x1
	ds_store_b128 v48, v[14:17]
	s_wait_loadcnt 0x0
	ds_store_b128 v49, v[58:61]
	s_wait_dscnt 0x0
	s_barrier_signal -1
	s_barrier_wait -1
	ds_load_b128 v[14:17], v50
	ds_load_b128 v[58:61], v51 offset:128
	ds_load_b128 v[62:65], v51 offset:512
	s_wait_dscnt 0x1
	;;#ASMSTART
	v_dot2_f32_f16 v12, v14, v58, v12
	;;#ASMEND
	;;#ASMSTART
	v_dot2_f32_f16 v12, v15, v59, v12
	;;#ASMEND
	;;#ASMSTART
	v_dot2_f32_f16 v12, v16, v60, v12
	;;#ASMEND
	;;#ASMSTART
	v_dot2_f32_f16 v12, v17, v61, v12
	;;#ASMEND
	s_wait_dscnt 0x0
	;;#ASMSTART
	v_dot2_f32_f16 v13, v14, v62, v13
	;;#ASMEND
	;;#ASMSTART
	v_dot2_f32_f16 v13, v15, v63, v13
	;;#ASMEND
	;;#ASMSTART
	v_dot2_f32_f16 v13, v16, v64, v13
	;;#ASMEND
	;;#ASMSTART
	v_dot2_f32_f16 v13, v17, v65, v13
	;;#ASMEND
	ds_load_b128 v[14:17], v50 offset:16
	ds_load_b128 v[58:61], v51 offset:144
	ds_load_b128 v[62:65], v51 offset:528
	s_wait_dscnt 0x1
	;;#ASMSTART
	v_dot2_f32_f16 v12, v14, v58, v12
	;;#ASMEND
	;;#ASMSTART
	v_dot2_f32_f16 v12, v15, v59, v12
	;;#ASMEND
	;;#ASMSTART
	v_dot2_f32_f16 v12, v16, v60, v12
	;;#ASMEND
	;;#ASMSTART
	v_dot2_f32_f16 v12, v17, v61, v12
	;;#ASMEND
	s_wait_dscnt 0x0
	;;#ASMSTART
	v_dot2_f32_f16 v13, v14, v62, v13
	;;#ASMEND
	;;#ASMSTART
	v_dot2_f32_f16 v13, v15, v63, v13
	;;#ASMEND
	;;#ASMSTART
	v_dot2_f32_f16 v13, v16, v64, v13
	;;#ASMEND
	;;#ASMSTART
	v_dot2_f32_f16 v13, v17, v65, v13
	;;#ASMEND
	ds_load_b128 v[14:17], v50 offset:32
	;; [unrolled: 29-line block ×7, first 2 shown]
	ds_load_b128 v[58:61], v51 offset:240
	ds_load_b128 v[62:65], v51 offset:624
	s_wait_dscnt 0x1
	;;#ASMSTART
	v_dot2_f32_f16 v12, v14, v58, v12
	;;#ASMEND
	;;#ASMSTART
	v_dot2_f32_f16 v12, v15, v59, v12
	;;#ASMEND
	;; [unrolled: 3-line block ×4, first 2 shown]
	s_wait_dscnt 0x0
	;;#ASMSTART
	v_dot2_f32_f16 v13, v14, v62, v13
	;;#ASMEND
	;;#ASMSTART
	v_dot2_f32_f16 v13, v15, v63, v13
	;;#ASMEND
	;; [unrolled: 3-line block ×4, first 2 shown]
	s_barrier_signal -1
	s_barrier_wait -1
	s_clause 0x1
	global_load_b128 v[14:17], v[0:1], off offset:256
	global_load_b128 v[58:61], v[2:3], off offset:256
	s_wait_loadcnt 0x1
	ds_store_b128 v48, v[14:17]
	s_wait_loadcnt 0x0
	ds_store_b128 v49, v[58:61]
	s_wait_dscnt 0x0
	s_barrier_signal -1
	s_barrier_wait -1
	ds_load_b128 v[0:3], v50
	ds_load_b128 v[14:17], v51 offset:256
	ds_load_b128 v[58:61], v51 offset:640
	s_wait_dscnt 0x1
	;;#ASMSTART
	v_dot2_f32_f16 v12, v0, v14, v12
	;;#ASMEND
	;;#ASMSTART
	v_dot2_f32_f16 v12, v1, v15, v12
	;;#ASMEND
	;;#ASMSTART
	v_dot2_f32_f16 v12, v2, v16, v12
	;;#ASMEND
	;;#ASMSTART
	v_dot2_f32_f16 v12, v3, v17, v12
	;;#ASMEND
	s_wait_dscnt 0x0
	;;#ASMSTART
	v_dot2_f32_f16 v13, v0, v58, v13
	;;#ASMEND
	;;#ASMSTART
	v_dot2_f32_f16 v13, v1, v59, v13
	;;#ASMEND
	;;#ASMSTART
	v_dot2_f32_f16 v13, v2, v60, v13
	;;#ASMEND
	;;#ASMSTART
	v_dot2_f32_f16 v13, v3, v61, v13
	;;#ASMEND
	ds_load_b128 v[0:3], v50 offset:16
	ds_load_b128 v[14:17], v51 offset:272
	ds_load_b128 v[58:61], v51 offset:656
	s_wait_dscnt 0x1
	;;#ASMSTART
	v_dot2_f32_f16 v12, v0, v14, v12
	;;#ASMEND
	;;#ASMSTART
	v_dot2_f32_f16 v12, v1, v15, v12
	;;#ASMEND
	;;#ASMSTART
	v_dot2_f32_f16 v12, v2, v16, v12
	;;#ASMEND
	;;#ASMSTART
	v_dot2_f32_f16 v12, v3, v17, v12
	;;#ASMEND
	s_wait_dscnt 0x0
	;;#ASMSTART
	v_dot2_f32_f16 v13, v0, v58, v13
	;;#ASMEND
	;;#ASMSTART
	v_dot2_f32_f16 v13, v1, v59, v13
	;;#ASMEND
	;;#ASMSTART
	v_dot2_f32_f16 v13, v2, v60, v13
	;;#ASMEND
	;;#ASMSTART
	v_dot2_f32_f16 v13, v3, v61, v13
	;;#ASMEND
	ds_load_b128 v[0:3], v50 offset:32
	;; [unrolled: 29-line block ×7, first 2 shown]
	ds_load_b128 v[14:17], v51 offset:368
	ds_load_b128 v[58:61], v51 offset:752
	s_wait_dscnt 0x1
	;;#ASMSTART
	v_dot2_f32_f16 v12, v0, v14, v12
	;;#ASMEND
	;;#ASMSTART
	v_dot2_f32_f16 v12, v1, v15, v12
	;;#ASMEND
	;; [unrolled: 3-line block ×4, first 2 shown]
	s_wait_dscnt 0x0
	;;#ASMSTART
	v_dot2_f32_f16 v13, v0, v58, v13
	;;#ASMEND
	;;#ASMSTART
	v_dot2_f32_f16 v13, v1, v59, v13
	;;#ASMEND
	;; [unrolled: 3-line block ×4, first 2 shown]
	global_load_u16 v10, v10, s[34:35] scale_offset
	v_add_nc_u64_e32 v[14:15], s[2:3], v[30:31]
	v_add_nc_u64_e32 v[16:17], s[2:3], v[34:35]
	s_add_nc_u64 s[2:3], s[8:9], s[4:5]
	s_wait_loadcnt 0x0
	v_add_nc_u64_e32 v[0:1], s[2:3], v[30:31]
	v_add_nc_u64_e32 v[18:19], s[2:3], v[34:35]
	s_barrier_signal -1
	v_add_nc_u64_e32 v[14:15], v[14:15], v[32:33]
	v_add_nc_u64_e32 v[58:59], v[16:17], v[32:33]
	s_barrier_wait -1
	s_delay_alu instid0(VALU_DEP_4) | instskip(NEXT) | instid1(VALU_DEP_4)
	v_add_nc_u64_e32 v[2:3], v[0:1], v[32:33]
	v_add_nc_u64_e32 v[0:1], v[18:19], v[32:33]
	global_load_b128 v[14:17], v[14:15], off
	s_wait_xcnt 0x1
	v_cvt_f32_f16_e32 v10, v10
	s_delay_alu instid0(VALU_DEP_1) | instskip(NEXT) | instid1(VALU_DEP_1)
	v_dual_add_f32 v12, v12, v10 :: v_dual_lshlrev_b32 v37, 2, v37
	v_dual_add_f32 v10, v13, v10 :: v_dual_add_f32 v13, 0x40051340, v12
	s_delay_alu instid0(VALU_DEP_1) | instskip(SKIP_3) | instid1(VALU_DEP_1)
	v_dual_add_f32 v18, 0x40051340, v10 :: v_dual_max_num_f32 v13, v66, v13
	ds_bpermute_b32 v19, v11, v13
	s_wait_dscnt 0x0
	v_max_num_f32_e32 v19, v19, v19
	v_dual_max_num_f32 v18, v67, v18 :: v_dual_max_num_f32 v13, v13, v19
	ds_bpermute_b32 v11, v11, v18
	s_wait_dscnt 0x0
	v_max_num_f32_e32 v11, v11, v11
	s_delay_alu instid0(VALU_DEP_1) | instskip(SKIP_3) | instid1(VALU_DEP_1)
	v_max_num_f32_e32 v11, v18, v11
	ds_bpermute_b32 v18, v68, v13
	s_wait_dscnt 0x0
	v_max_num_f32_e32 v18, v18, v18
	v_max_num_f32_e32 v13, v13, v18
	ds_bpermute_b32 v18, v69, v13
	s_wait_dscnt 0x0
	v_max_num_f32_e32 v18, v18, v18
	ds_bpermute_b32 v19, v68, v11
	v_max_num_f32_e32 v13, v13, v18
	ds_bpermute_b32 v18, v36, v13
	s_wait_dscnt 0x1
	v_max_num_f32_e32 v19, v19, v19
	s_wait_dscnt 0x0
	s_delay_alu instid0(VALU_DEP_1)
	v_dual_max_num_f32 v11, v11, v19 :: v_dual_max_num_f32 v18, v18, v18
	ds_bpermute_b32 v19, v69, v11
	v_max_num_f32_e32 v13, v13, v18
	ds_bpermute_b32 v18, v37, v13
	s_wait_dscnt 0x1
	v_max_num_f32_e32 v19, v19, v19
	s_wait_dscnt 0x0
	s_delay_alu instid0(VALU_DEP_1) | instskip(SKIP_2) | instid1(VALU_DEP_1)
	v_dual_max_num_f32 v11, v11, v19 :: v_dual_max_num_f32 v18, v18, v18
	ds_bpermute_b32 v19, v36, v11
	v_max_num_f32_e32 v36, v13, v18
	v_dual_sub_f32 v5, v5, v36 :: v_dual_sub_f32 v18, v12, v36
	s_delay_alu instid0(VALU_DEP_1) | instskip(NEXT) | instid1(VALU_DEP_2)
	v_cmp_ngt_f32_e64 s4, 0xc2ce8ed0, v5
	v_cmp_ngt_f32_e32 vcc_lo, 0xc2ce8ed0, v18
	s_wait_dscnt 0x0
	v_max_num_f32_e32 v19, v19, v19
	s_delay_alu instid0(VALU_DEP_1) | instskip(SKIP_3) | instid1(VALU_DEP_1)
	v_max_num_f32_e32 v11, v11, v19
	ds_bpermute_b32 v19, v37, v11
	s_wait_dscnt 0x0
	v_max_num_f32_e32 v19, v19, v19
	v_max_num_f32_e32 v37, v11, v19
	v_mul_f32_e32 v11, 0x3fb8aa3b, v18
	s_delay_alu instid0(VALU_DEP_2) | instskip(SKIP_2) | instid1(VALU_DEP_4)
	v_sub_f32_e32 v19, v10, v37
	v_mul_f32_e32 v10, 0x3fb8aa3b, v5
	v_sub_f32_e32 v4, v4, v37
	v_fma_f32 v62, 0x3fb8aa3b, v18, -v11
	v_rndne_f32_e32 v64, v11
	s_delay_alu instid0(VALU_DEP_4) | instskip(NEXT) | instid1(VALU_DEP_4)
	v_fma_f32 v60, 0x3fb8aa3b, v5, -v10
	v_mul_f32_e32 v12, 0x3fb8aa3b, v4
	v_rndne_f32_e32 v61, v10
	v_mul_f32_e32 v13, 0x3fb8aa3b, v19
	v_fmac_f32_e32 v62, 0x32a5705f, v18
	v_cmp_ngt_f32_e64 s3, 0xc2ce8ed0, v19
	v_fma_f32 v63, 0x3fb8aa3b, v4, -v12
	v_fmac_f32_e32 v60, 0x32a5705f, v5
	v_sub_f32_e32 v10, v10, v61
	v_rndne_f32_e32 v65, v12
	v_cmp_ngt_f32_e64 s2, 0xc2ce8ed0, v4
	v_fmac_f32_e32 v63, 0x32a5705f, v4
	s_delay_alu instid0(VALU_DEP_4) | instskip(NEXT) | instid1(VALU_DEP_4)
	v_add_f32_e32 v60, v10, v60
	v_dual_sub_f32 v10, v11, v64 :: v_dual_sub_f32 v12, v12, v65
	v_fma_f32 v11, 0x3fb8aa3b, v19, -v13
	s_delay_alu instid0(VALU_DEP_1) | instskip(NEXT) | instid1(VALU_DEP_3)
	v_dual_fmac_f32 v11, 0x32a5705f, v19 :: v_dual_add_f32 v10, v10, v62
	v_add_f32_e32 v62, v12, v63
	v_rndne_f32_e32 v63, v13
	v_exp_f32_e32 v60, v60
	s_delay_alu instid0(VALU_DEP_3) | instskip(NEXT) | instid1(VALU_DEP_1)
	v_exp_f32_e32 v10, v10
	v_sub_f32_e32 v12, v13, v63
	v_cvt_i32_f32_e32 v13, v64
	v_exp_f32_e32 v62, v62
	s_delay_alu instid0(TRANS32_DEP_2) | instid1(VALU_DEP_1)
	v_ldexp_f32 v66, v10, v13
	s_delay_alu instid0(VALU_DEP_3)
	v_add_f32_e32 v64, v12, v11
	global_load_b128 v[10:13], v[58:59], off
	s_wait_xcnt 0x0
	v_cvt_i32_f32_e32 v59, v61
	v_cvt_i32_f32_e32 v58, v63
	;; [unrolled: 1-line block ×3, first 2 shown]
	s_delay_alu instid0(VALU_DEP_3) | instskip(NEXT) | instid1(VALU_DEP_2)
	v_ldexp_f32 v59, v60, v59
	v_ldexp_f32 v60, v62, v61
	s_delay_alu instid0(VALU_DEP_2)
	v_cndmask_b32_e64 v59, 0, v59, s4
	v_cmp_nlt_f32_e64 s4, 0x42b17218, v5
	v_cndmask_b32_e32 v5, 0, v66, vcc_lo
	v_exp_f32_e32 v63, v64
	v_cndmask_b32_e64 v60, 0, v60, s2
	v_cmp_nlt_f32_e64 s2, 0x42b17218, v19
	v_cmp_nlt_f32_e32 vcc_lo, 0x42b17218, v4
	s_delay_alu instid0(TRANS32_DEP_1) | instskip(NEXT) | instid1(VALU_DEP_1)
	v_ldexp_f32 v58, v63, v58
	v_cndmask_b32_e64 v58, 0, v58, s3
	v_cmp_nlt_f32_e64 s3, 0x42b17218, v18
	v_cndmask_b32_e64 v18, 0x7f800000, v59, s4
	s_delay_alu instid0(VALU_DEP_2) | instskip(NEXT) | instid1(VALU_DEP_4)
	v_cndmask_b32_e64 v4, 0x7f800000, v5, s3
	v_cndmask_b32_e64 v5, 0x7f800000, v58, s2
	s_delay_alu instid0(VALU_DEP_1)
	v_cvt_pk_f16_f32 v58, v4, v5
	ds_store_b32 v56, v58
	s_wait_loadcnt 0x1
	ds_store_b128 v52, v[14:17]
	s_wait_loadcnt 0x0
	ds_store_b128 v55, v[10:13]
	s_wait_dscnt 0x0
	s_barrier_signal -1
	s_barrier_wait -1
	ds_load_b128 v[10:13], v54
	v_cndmask_b32_e32 v19, 0x7f800000, v60, vcc_lo
	ds_load_2addr_b64 v[14:17], v40 offset1:32
	ds_load_b128 v[58:61], v54 offset:16
	ds_load_2addr_b64 v[62:65], v40 offset0:64 offset1:96
	v_pk_fma_f32 v[22:23], v[22:23], v[18:19], v[4:5]
	v_cvt_f16_f32_e32 v4, v18
	v_cvt_f16_f32_e32 v5, v19
	s_delay_alu instid0(VALU_DEP_2) | instskip(NEXT) | instid1(VALU_DEP_2)
	v_and_b32_e32 v4, 0xffff, v4
	v_and_b32_e32 v5, 0xffff, v5
	s_delay_alu instid0(VALU_DEP_2) | instskip(NEXT) | instid1(VALU_DEP_2)
	v_mul_u32_u24_e32 v4, 0x10001, v4
	v_mul_u32_u24_e32 v5, 0x10001, v5
	s_wait_dscnt 0x3
	v_and_b32_e32 v18, 0xffff, v10
	v_lshrrev_b32_e32 v10, 16, v10
	v_pk_mul_f16 v9, v9, v4
	s_delay_alu instid0(VALU_DEP_3) | instskip(NEXT) | instid1(VALU_DEP_3)
	v_mul_u32_u24_e32 v18, 0x10001, v18
	v_mul_u32_u24_e32 v10, 0x10001, v10
	s_wait_dscnt 0x2
	s_delay_alu instid0(VALU_DEP_2) | instskip(NEXT) | instid1(VALU_DEP_2)
	v_pk_mul_f16 v19, v14, v18
	v_pk_mul_f16 v14, v14, v10
	s_delay_alu instid0(VALU_DEP_2) | instskip(NEXT) | instid1(VALU_DEP_2)
	v_pk_fma_f16 v4, v8, v4, v19
	v_pk_fma_f16 v7, v7, v5, v14
	v_pk_mul_f16 v5, v6, v5
	v_and_b32_e32 v6, 0xffff, v11
	v_pk_fma_f16 v8, v15, v18, v9
	v_lshrrev_b32_e32 v9, 16, v11
	s_delay_alu instid0(VALU_DEP_4) | instskip(NEXT) | instid1(VALU_DEP_4)
	v_pk_fma_f16 v5, v15, v10, v5
	v_mul_u32_u24_e32 v6, 0x10001, v6
	s_delay_alu instid0(VALU_DEP_3) | instskip(NEXT) | instid1(VALU_DEP_2)
	v_mul_u32_u24_e32 v9, 0x10001, v9
	v_pk_fma_f16 v8, v17, v6, v8
	v_pk_fma_f16 v10, v16, v6, v4
	s_delay_alu instid0(VALU_DEP_3)
	v_pk_fma_f16 v14, v17, v9, v5
	v_pk_fma_f16 v15, v16, v9, v7
	ds_load_2addr_b64 v[4:7], v40 offset0:128 offset1:160
	v_and_b32_e32 v9, 0xffff, v12
	v_dual_lshrrev_b32 v12, 16, v12 :: v_dual_lshrrev_b32 v16, 16, v13
	v_and_b32_e32 v13, 0xffff, v13
	s_delay_alu instid0(VALU_DEP_3) | instskip(NEXT) | instid1(VALU_DEP_3)
	v_mul_u32_u24_e32 v9, 0x10001, v9
	v_mul_u32_u24_e32 v12, 0x10001, v12
	s_delay_alu instid0(VALU_DEP_4) | instskip(NEXT) | instid1(VALU_DEP_4)
	v_mul_u32_u24_e32 v16, 0x10001, v16
	v_mul_u32_u24_e32 v13, 0x10001, v13
	s_wait_dscnt 0x1
	v_pk_fma_f16 v17, v63, v9, v8
	v_pk_fma_f16 v18, v62, v9, v10
	;; [unrolled: 1-line block ×4, first 2 shown]
	v_and_b32_e32 v62, 0xffff, v58
	ds_load_2addr_b64 v[8:11], v40 offset0:192 offset1:224
	v_pk_fma_f16 v17, v65, v13, v17
	v_pk_fma_f16 v18, v64, v13, v18
	v_lshrrev_b32_e32 v58, 16, v58
	v_and_b32_e32 v63, 0xffff, v59
	v_mul_u32_u24_e32 v62, 0x10001, v62
	v_pk_fma_f16 v19, v65, v16, v14
	v_pk_fma_f16 v16, v64, v16, v12
	ds_load_b128 v[12:15], v54 offset:32
	v_lshrrev_b32_e32 v59, 16, v59
	s_wait_dscnt 0x2
	v_pk_fma_f16 v17, v5, v62, v17
	v_pk_fma_f16 v18, v4, v62, v18
	v_mul_u32_u24_e32 v58, 0x10001, v58
	v_mul_u32_u24_e32 v62, 0x10001, v63
	;; [unrolled: 1-line block ×3, first 2 shown]
	s_delay_alu instid0(VALU_DEP_3) | instskip(SKIP_1) | instid1(VALU_DEP_4)
	v_pk_fma_f16 v5, v5, v58, v19
	v_pk_fma_f16 v4, v4, v58, v16
	v_pk_fma_f16 v16, v7, v62, v17
	v_pk_fma_f16 v17, v6, v62, v18
	v_and_b32_e32 v18, 0xffff, v60
	v_dual_lshrrev_b32 v60, 16, v60 :: v_dual_lshrrev_b32 v62, 16, v61
	v_pk_fma_f16 v58, v7, v59, v5
	v_pk_fma_f16 v59, v6, v59, v4
	ds_load_2addr_b64 v[4:7], v57 offset1:32
	v_and_b32_e32 v61, 0xffff, v61
	v_mul_u32_u24_e32 v18, 0x10001, v18
	v_mul_u32_u24_e32 v60, 0x10001, v60
	;; [unrolled: 1-line block ×3, first 2 shown]
	s_delay_alu instid0(VALU_DEP_4)
	v_mul_u32_u24_e32 v61, 0x10001, v61
	s_wait_dscnt 0x2
	v_pk_fma_f16 v63, v9, v18, v16
	v_pk_fma_f16 v64, v8, v18, v17
	;; [unrolled: 1-line block ×4, first 2 shown]
	ds_load_2addr_b64 v[16:19], v57 offset0:64 offset1:96
	v_pk_fma_f16 v58, v11, v61, v63
	v_pk_fma_f16 v60, v10, v61, v64
	v_pk_fma_f16 v59, v11, v62, v9
	v_pk_fma_f16 v61, v10, v62, v8
	ds_load_b128 v[8:11], v54 offset:48
	s_wait_dscnt 0x3
	v_and_b32_e32 v62, 0xffff, v12
	v_lshrrev_b32_e32 v12, 16, v12
	v_and_b32_e32 v63, 0xffff, v13
	v_lshrrev_b32_e32 v13, 16, v13
	s_delay_alu instid0(VALU_DEP_4) | instskip(NEXT) | instid1(VALU_DEP_4)
	v_mul_u32_u24_e32 v62, 0x10001, v62
	v_mul_u32_u24_e32 v12, 0x10001, v12
	s_delay_alu instid0(VALU_DEP_3) | instskip(SKIP_1) | instid1(VALU_DEP_3)
	v_mul_u32_u24_e32 v13, 0x10001, v13
	s_wait_dscnt 0x2
	v_pk_fma_f16 v58, v5, v62, v58
	v_pk_fma_f16 v60, v4, v62, v60
	v_mul_u32_u24_e32 v62, 0x10001, v63
	v_pk_fma_f16 v5, v5, v12, v59
	v_pk_fma_f16 v4, v4, v12, v61
	v_lshrrev_b32_e32 v61, 16, v14
	v_and_b32_e32 v63, 0xffff, v15
	v_pk_fma_f16 v12, v7, v62, v58
	v_pk_fma_f16 v58, v7, v13, v5
	;; [unrolled: 1-line block ×4, first 2 shown]
	v_and_b32_e32 v13, 0xffff, v14
	ds_load_2addr_b64 v[4:7], v57 offset0:128 offset1:160
	v_lshrrev_b32_e32 v62, 16, v15
	v_mul_u32_u24_e32 v61, 0x10001, v61
	s_wait_dscnt 0x1
	v_and_b32_e32 v65, 0xffff, v11
	v_mul_u32_u24_e32 v13, 0x10001, v13
	s_delay_alu instid0(VALU_DEP_1)
	v_pk_fma_f16 v64, v17, v13, v12
	v_pk_fma_f16 v59, v16, v13, v59
	;; [unrolled: 1-line block ×3, first 2 shown]
	v_mul_u32_u24_e32 v60, 0x10001, v63
	v_pk_fma_f16 v17, v17, v61, v58
	v_and_b32_e32 v58, 0xffff, v8
	ds_load_2addr_b64 v[12:15], v57 offset0:192 offset1:224
	s_wait_dscnt 0x0
	v_pk_fma_f16 v61, v19, v60, v64
	v_pk_fma_f16 v59, v18, v60, v59
	v_lshrrev_b32_e32 v60, 16, v8
	v_mul_u32_u24_e32 v8, 0x10001, v62
	s_barrier_signal -1
	s_barrier_wait -1
	v_dual_lshrrev_b32 v62, 16, v10 :: v_dual_lshrrev_b32 v64, 16, v11
	s_delay_alu instid0(VALU_DEP_2)
	v_pk_fma_f16 v17, v19, v8, v17
	v_pk_fma_f16 v16, v18, v8, v16
	v_and_b32_e32 v18, 0xffff, v9
	v_lshrrev_b32_e32 v19, 16, v9
	v_and_b32_e32 v63, 0xffff, v10
	global_load_b128 v[8:11], v[2:3], off
	s_wait_xcnt 0x0
	v_mul_u32_u24_e32 v2, 0x10001, v58
	v_mul_u32_u24_e32 v60, 0x10001, v60
	;; [unrolled: 1-line block ×5, first 2 shown]
	v_pk_fma_f16 v58, v5, v2, v61
	v_pk_fma_f16 v59, v4, v2, v59
	global_load_b128 v[0:3], v[0:1], off
	v_pk_fma_f16 v5, v5, v60, v17
	v_pk_fma_f16 v4, v4, v60, v16
	v_mul_u32_u24_e32 v61, 0x10001, v63
	v_pk_fma_f16 v16, v7, v18, v58
	v_mul_u32_u24_e32 v63, 0x10001, v65
	v_pk_fma_f16 v5, v7, v19, v5
	v_pk_fma_f16 v7, v6, v18, v59
	;; [unrolled: 1-line block ×3, first 2 shown]
	v_mul_u32_u24_e32 v64, 0x10001, v64
	v_pk_fma_f16 v6, v13, v61, v16
	v_pk_fma_f16 v5, v13, v62, v5
	;; [unrolled: 1-line block ×4, first 2 shown]
	s_wait_loadcnt 0x1
	ds_store_b128 v52, v[8:11]
	s_wait_loadcnt 0x0
	ds_store_b128 v55, v[0:3]
	v_pk_fma_f16 v16, v15, v63, v6
	v_pk_fma_f16 v17, v15, v64, v5
	;; [unrolled: 1-line block ×4, first 2 shown]
	s_wait_dscnt 0x0
	s_barrier_signal -1
	s_barrier_wait -1
	ds_load_b128 v[0:3], v54 offset:64
	ds_load_2addr_b64 v[8:11], v40 offset1:32
	ds_load_2addr_b64 v[12:15], v40 offset0:64 offset1:96
	ds_load_b128 v[4:7], v54 offset:80
	ds_load_2addr_b64 v[58:61], v40 offset0:128 offset1:160
	s_wait_dscnt 0x4
	v_and_b32_e32 v62, 0xffff, v0
	v_lshrrev_b32_e32 v0, 16, v0
	v_and_b32_e32 v63, 0xffff, v1
	v_lshrrev_b32_e32 v1, 16, v1
	s_delay_alu instid0(VALU_DEP_4) | instskip(NEXT) | instid1(VALU_DEP_4)
	v_mul_u32_u24_e32 v62, 0x10001, v62
	v_mul_u32_u24_e32 v0, 0x10001, v0
	s_delay_alu instid0(VALU_DEP_3) | instskip(SKIP_1) | instid1(VALU_DEP_3)
	v_mul_u32_u24_e32 v1, 0x10001, v1
	s_wait_dscnt 0x3
	v_pk_fma_f16 v18, v8, v62, v18
	s_delay_alu instid0(VALU_DEP_3) | instskip(SKIP_3) | instid1(VALU_DEP_4)
	v_pk_fma_f16 v8, v8, v0, v19
	v_pk_fma_f16 v0, v9, v0, v17
	;; [unrolled: 1-line block ×3, first 2 shown]
	v_mul_u32_u24_e32 v62, 0x10001, v63
	v_pk_fma_f16 v63, v10, v1, v8
	s_delay_alu instid0(VALU_DEP_4)
	v_pk_fma_f16 v0, v11, v1, v0
	v_and_b32_e32 v1, 0xffff, v2
	v_lshrrev_b32_e32 v2, 16, v2
	v_pk_fma_f16 v17, v10, v62, v18
	v_pk_fma_f16 v16, v11, v62, v16
	v_lshrrev_b32_e32 v62, 16, v3
	v_and_b32_e32 v3, 0xffff, v3
	v_mul_u32_u24_e32 v1, 0x10001, v1
	v_mul_u32_u24_e32 v2, 0x10001, v2
	ds_load_2addr_b64 v[8:11], v40 offset0:192 offset1:224
	v_mul_u32_u24_e32 v62, 0x10001, v62
	v_mul_u32_u24_e32 v3, 0x10001, v3
	s_wait_dscnt 0x3
	v_pk_fma_f16 v64, v12, v1, v17
	v_pk_fma_f16 v1, v13, v1, v16
	;; [unrolled: 1-line block ×4, first 2 shown]
	s_wait_dscnt 0x2
	v_and_b32_e32 v63, 0xffff, v5
	v_pk_fma_f16 v13, v14, v3, v64
	v_lshrrev_b32_e32 v5, 16, v5
	v_pk_fma_f16 v12, v14, v62, v12
	v_pk_fma_f16 v14, v15, v3, v1
	;; [unrolled: 1-line block ×3, first 2 shown]
	v_and_b32_e32 v62, 0xffff, v4
	v_lshrrev_b32_e32 v4, 16, v4
	ds_load_b128 v[16:19], v54 offset:96
	v_mul_u32_u24_e32 v5, 0x10001, v5
	ds_load_2addr_b64 v[0:3], v57 offset1:32
	v_mul_u32_u24_e32 v62, 0x10001, v62
	v_mul_u32_u24_e32 v4, 0x10001, v4
	v_and_b32_e32 v64, 0xffff, v7
	s_wait_dscnt 0x3
	s_delay_alu instid0(VALU_DEP_3)
	v_pk_fma_f16 v13, v58, v62, v13
	v_pk_fma_f16 v14, v59, v62, v14
	v_mul_u32_u24_e32 v62, 0x10001, v63
	v_pk_fma_f16 v12, v58, v4, v12
	v_pk_fma_f16 v4, v59, v4, v15
	v_lshrrev_b32_e32 v63, 16, v7
	s_delay_alu instid0(VALU_DEP_4) | instskip(NEXT) | instid1(VALU_DEP_4)
	v_pk_fma_f16 v58, v60, v62, v13
	v_pk_fma_f16 v59, v60, v5, v12
	v_pk_fma_f16 v60, v61, v62, v14
	v_pk_fma_f16 v61, v61, v5, v4
	v_and_b32_e32 v4, 0xffff, v6
	v_lshrrev_b32_e32 v62, 16, v6
	ds_load_2addr_b64 v[12:15], v57 offset0:64 offset1:96
	v_mul_u32_u24_e32 v4, 0x10001, v4
	v_mul_u32_u24_e32 v62, 0x10001, v62
	s_wait_dscnt 0x3
	s_delay_alu instid0(VALU_DEP_2) | instskip(SKIP_1) | instid1(VALU_DEP_3)
	v_pk_fma_f16 v58, v8, v4, v58
	v_pk_fma_f16 v60, v9, v4, v60
	;; [unrolled: 1-line block ×3, first 2 shown]
	v_mul_u32_u24_e32 v61, 0x10001, v64
	ds_load_b128 v[4:7], v54 offset:112
	v_pk_fma_f16 v8, v8, v62, v59
	s_wait_dscnt 0x3
	v_and_b32_e32 v59, 0xffff, v16
	v_lshrrev_b32_e32 v16, 16, v16
	v_pk_fma_f16 v58, v10, v61, v58
	v_pk_fma_f16 v60, v11, v61, v60
	v_mul_u32_u24_e32 v61, 0x10001, v63
	v_and_b32_e32 v63, 0xffff, v17
	v_lshrrev_b32_e32 v17, 16, v17
	v_mul_u32_u24_e32 v16, 0x10001, v16
	v_and_b32_e32 v64, 0xffff, v18
	v_pk_fma_f16 v62, v10, v61, v8
	v_pk_fma_f16 v61, v11, v61, v9
	v_mul_u32_u24_e32 v8, 0x10001, v59
	v_dual_lshrrev_b32 v18, 16, v18 :: v_dual_lshrrev_b32 v65, 16, v19
	v_mul_u32_u24_e32 v17, 0x10001, v17
	v_and_b32_e32 v19, 0xffff, v19
	s_wait_dscnt 0x2
	v_pk_fma_f16 v58, v0, v8, v58
	v_pk_fma_f16 v59, v1, v8, v60
	ds_load_2addr_b64 v[8:11], v57 offset0:128 offset1:160
	v_pk_fma_f16 v0, v0, v16, v62
	v_pk_fma_f16 v1, v1, v16, v61
	v_mul_u32_u24_e32 v60, 0x10001, v63
	v_mul_u32_u24_e32 v18, 0x10001, v18
	s_wait_dscnt 0x1
	v_dual_lshrrev_b32 v16, 16, v4 :: v_dual_lshrrev_b32 v61, 16, v5
	v_and_b32_e32 v4, 0xffff, v4
	v_pk_fma_f16 v58, v2, v60, v58
	v_pk_fma_f16 v59, v3, v60, v59
	;; [unrolled: 1-line block ×4, first 2 shown]
	v_mul_u32_u24_e32 v0, 0x10001, v64
	v_mul_u32_u24_e32 v19, 0x10001, v19
	;; [unrolled: 1-line block ×3, first 2 shown]
	v_and_b32_e32 v5, 0xffff, v5
	v_mul_u32_u24_e32 v4, 0x10001, v4
	v_pk_fma_f16 v58, v12, v0, v58
	v_pk_fma_f16 v59, v13, v0, v59
	ds_load_2addr_b64 v[0:3], v57 offset0:192 offset1:224
	v_pk_fma_f16 v12, v12, v18, v60
	v_pk_fma_f16 v13, v13, v18, v17
	s_wait_dscnt 0x0
	s_barrier_signal -1
	s_barrier_wait -1
	s_load_b32 s2, s[24:25], 0x4
	v_mul_u32_u24_e32 v16, 0x10001, v16
	v_pk_fma_f16 v17, v14, v19, v58
	v_pk_fma_f16 v12, v14, v64, v12
	;; [unrolled: 1-line block ×4, first 2 shown]
	v_dual_lshrrev_b32 v62, 16, v6 :: v_dual_lshrrev_b32 v63, 16, v7
	v_and_b32_e32 v6, 0xffff, v6
	v_and_b32_e32 v7, 0xffff, v7
	v_mul_u32_u24_e32 v5, 0x10001, v5
	v_mul_u32_u24_e32 v61, 0x10001, v61
	v_pk_fma_f16 v17, v8, v4, v17
	v_pk_fma_f16 v8, v8, v16, v12
	;; [unrolled: 1-line block ×4, first 2 shown]
	v_mul_u32_u24_e32 v6, 0x10001, v6
	v_mul_u32_u24_e32 v15, 0x10001, v62
	v_mul_u32_u24_e32 v12, 0x10001, v7
	v_pk_fma_f16 v7, v10, v5, v17
	v_pk_fma_f16 v8, v10, v61, v8
	;; [unrolled: 1-line block ×4, first 2 shown]
	v_mul_u32_u24_e32 v10, 0x10001, v63
	v_pk_fma_f16 v7, v0, v6, v7
	v_pk_fma_f16 v0, v0, v15, v8
	;; [unrolled: 1-line block ×4, first 2 shown]
	s_wait_kmcnt 0x0
	s_lshl_b32 s2, s2, 5
	v_pk_fma_f16 v8, v2, v12, v7
	v_pk_fma_f16 v7, v2, v10, v0
	;; [unrolled: 1-line block ×4, first 2 shown]
	s_add_co_i32 s10, s2, s10
	s_delay_alu instid0(SALU_CYCLE_1)
	s_cmp_ge_i32 s10, s30
	s_cbranch_scc0 .LBB16_13
; %bb.14:
	v_mov_b32_e32 v0, v41
.LBB16_15:
	v_cmp_lt_i32_e32 vcc_lo, v47, v42
	s_cmp_lg_u64 s[12:13], 0
	s_cselect_b32 s2, -1, 0
	s_cmp_eq_u32 s31, 0
	v_cndmask_b32_e32 v1, v0, v47, vcc_lo
	v_cmp_lt_i32_e32 vcc_lo, v46, v42
	s_cselect_b32 s3, -1, 0
	s_delay_alu instid0(SALU_CYCLE_1) | instskip(NEXT) | instid1(VALU_DEP_2)
	s_and_b32 s2, s3, s2
	v_lshlrev_b32_e32 v1, 2, v1
	ds_bpermute_b32 v2, v1, v22
	ds_bpermute_b32 v3, v1, v23
	v_cndmask_b32_e32 v1, v0, v46, vcc_lo
	v_cmp_lt_i32_e32 vcc_lo, v45, v42
	s_delay_alu instid0(VALU_DEP_2)
	v_lshlrev_b32_e32 v1, 2, v1
	s_wait_dscnt 0x0
	v_pk_add_f32 v[2:3], v[22:23], v[2:3]
	ds_bpermute_b32 v4, v1, v2
	ds_bpermute_b32 v5, v1, v3
	v_cndmask_b32_e32 v1, v0, v45, vcc_lo
	v_cmp_lt_i32_e32 vcc_lo, v44, v42
	s_delay_alu instid0(VALU_DEP_2)
	v_lshlrev_b32_e32 v1, 2, v1
	s_wait_dscnt 0x0
	v_pk_add_f32 v[2:3], v[2:3], v[4:5]
	ds_bpermute_b32 v4, v1, v2
	ds_bpermute_b32 v5, v1, v3
	v_cndmask_b32_e32 v1, v0, v44, vcc_lo
	v_cmp_lt_i32_e32 vcc_lo, v43, v42
	s_delay_alu instid0(VALU_DEP_2) | instskip(SKIP_2) | instid1(VALU_DEP_1)
	v_dual_cndmask_b32 v0, v0, v43 :: v_dual_lshlrev_b32 v1, 2, v1
	s_and_b32 vcc_lo, exec_lo, s2
	s_mov_b32 s2, 0
	v_lshlrev_b32_e32 v10, 2, v0
	s_wait_dscnt 0x0
	v_pk_add_f32 v[2:3], v[2:3], v[4:5]
	ds_bpermute_b32 v4, v1, v2
	ds_bpermute_b32 v5, v1, v3
	s_wait_dscnt 0x0
	v_pk_add_f32 v[0:1], v[2:3], v[4:5]
	v_add_nc_u32_e32 v2, s33, v20
	ds_bpermute_b32 v4, v10, v0
	ds_bpermute_b32 v5, v10, v1
	s_cbranch_vccnz .LBB16_18
; %bb.16:
	v_add_nc_u32_e32 v3, s33, v20
	s_wait_dscnt 0x0
	v_pk_add_f32 v[0:1], v[0:1], v[4:5]
	s_and_not1_b32 vcc_lo, exec_lo, s2
	s_cbranch_vccz .LBB16_19
; %bb.17:
	v_mov_b32_e32 v2, v3
	s_branch .LBB16_20
.LBB16_18:
                                        ; implicit-def: $vgpr3
	s_wait_dscnt 0x0
	v_pk_add_f32 v[0:1], v[0:1], v[4:5]
.LBB16_19:
	v_dual_ashrrev_i32 v3, 31, v2 :: v_dual_max_num_f32 v11, v37, v37
	s_delay_alu instid0(VALU_DEP_1) | instskip(SKIP_4) | instid1(VALU_DEP_1)
	v_lshl_add_u64 v[4:5], v[2:3], 2, s[12:13]
	v_max_num_f32_e32 v3, v36, v36
	global_load_b64 v[4:5], v[4:5], off
	s_wait_loadcnt 0x0
	v_dual_max_num_f32 v10, v4, v4 :: v_dual_max_num_f32 v12, v5, v5
	v_max_num_f32_e32 v10, v3, v10
	s_delay_alu instid0(VALU_DEP_1) | instskip(NEXT) | instid1(VALU_DEP_1)
	v_dual_max_num_f32 v11, v11, v12 :: v_dual_sub_f32 v3, v36, v10
	v_dual_sub_f32 v12, v4, v10 :: v_dual_sub_f32 v13, v37, v11
	v_sub_f32_e32 v14, v5, v11
	v_mov_b64_e32 v[36:37], v[10:11]
	s_delay_alu instid0(VALU_DEP_3) | instskip(NEXT) | instid1(VALU_DEP_4)
	v_dual_mul_f32 v4, 0x3fb8aa3b, v3 :: v_dual_mul_f32 v5, 0x3fb8aa3b, v12
	v_mul_f32_e32 v15, 0x3fb8aa3b, v13
	v_cmp_ngt_f32_e32 vcc_lo, 0xc2ce8ed0, v3
	s_delay_alu instid0(VALU_DEP_3) | instskip(SKIP_1) | instid1(VALU_DEP_4)
	v_fma_f32 v17, 0x3fb8aa3b, v3, -v4
	v_rndne_f32_e32 v18, v4
	v_fma_f32 v22, 0x3fb8aa3b, v13, -v15
	v_rndne_f32_e32 v23, v15
	v_mul_f32_e32 v16, 0x3fb8aa3b, v14
	s_delay_alu instid0(VALU_DEP_4) | instskip(SKIP_3) | instid1(VALU_DEP_4)
	v_dual_fmac_f32 v17, 0x32a5705f, v3 :: v_dual_sub_f32 v4, v4, v18
	v_fma_f32 v19, 0x3fb8aa3b, v12, -v5
	v_rndne_f32_e32 v20, v5
	v_dual_fmac_f32 v22, 0x32a5705f, v13 :: v_dual_sub_f32 v15, v15, v23
	v_add_f32_e32 v4, v4, v17
	v_rndne_f32_e32 v25, v16
	v_fmac_f32_e32 v19, 0x32a5705f, v12
	s_delay_alu instid0(VALU_DEP_4) | instskip(NEXT) | instid1(VALU_DEP_4)
	v_dual_sub_f32 v5, v5, v20 :: v_dual_add_f32 v15, v15, v22
	v_exp_f32_e32 v4, v4
	v_fma_f32 v24, 0x3fb8aa3b, v14, -v16
	v_cvt_i32_f32_e32 v18, v18
	v_sub_f32_e32 v16, v16, v25
	v_exp_f32_e32 v15, v15
	s_delay_alu instid0(VALU_DEP_3) | instskip(SKIP_3) | instid1(VALU_DEP_4)
	v_dual_add_f32 v5, v5, v19 :: v_dual_fmac_f32 v24, 0x32a5705f, v14
	v_cvt_i32_f32_e32 v19, v23
	v_ldexp_f32 v4, v4, v18
	v_cvt_i32_f32_e32 v17, v20
	v_exp_f32_e32 v5, v5
	v_cvt_i32_f32_e32 v20, v25
	v_ldexp_f32 v15, v15, v19
	v_cndmask_b32_e32 v4, 0, v4, vcc_lo
	v_cmp_ngt_f32_e32 vcc_lo, 0xc2ce8ed0, v13
	s_delay_alu instid0(VALU_DEP_3) | instskip(SKIP_1) | instid1(VALU_DEP_2)
	v_dual_add_f32 v16, v16, v24 :: v_dual_cndmask_b32 v15, 0, v15
	v_cmp_nlt_f32_e32 vcc_lo, 0x42b17218, v3
	v_exp_f32_e32 v16, v16
	v_ldexp_f32 v3, v5, v17
	v_cndmask_b32_e32 v4, 0x7f800000, v4, vcc_lo
	v_cmp_nlt_f32_e32 vcc_lo, 0x42b17218, v13
	s_delay_alu instid0(TRANS32_DEP_1) | instskip(SKIP_3) | instid1(VALU_DEP_3)
	v_ldexp_f32 v13, v16, v20
	v_cndmask_b32_e32 v5, 0x7f800000, v15, vcc_lo
	v_cmp_ngt_f32_e32 vcc_lo, 0xc2ce8ed0, v12
	v_cvt_f16_f32_e32 v15, v4
	v_cvt_f16_f32_e32 v16, v5
	v_cndmask_b32_e32 v3, 0, v3, vcc_lo
	v_cmp_ngt_f32_e32 vcc_lo, 0xc2ce8ed0, v14
	s_delay_alu instid0(VALU_DEP_4)
	v_and_b32_e32 v15, 0xffff, v15
	v_cndmask_b32_e32 v13, 0, v13, vcc_lo
	v_cmp_nlt_f32_e32 vcc_lo, 0x42b17218, v12
	v_cndmask_b32_e32 v12, 0x7f800000, v3, vcc_lo
	v_and_b32_e32 v3, 0xffff, v16
	v_cmp_nlt_f32_e32 vcc_lo, 0x42b17218, v14
	v_mul_u32_u24_e32 v14, 0x10001, v15
	s_delay_alu instid0(VALU_DEP_3) | instskip(SKIP_1) | instid1(VALU_DEP_3)
	v_mul_u32_u24_e32 v3, 0x10001, v3
	v_cndmask_b32_e32 v13, 0x7f800000, v13, vcc_lo
	v_pk_mul_f16 v8, v8, v14
	v_pk_mul_f16 v9, v9, v14
	s_delay_alu instid0(VALU_DEP_4) | instskip(NEXT) | instid1(VALU_DEP_4)
	v_pk_mul_f16 v7, v7, v3
	v_pk_fma_f32 v[0:1], v[0:1], v[4:5], v[12:13]
	v_pk_mul_f16 v6, v6, v3
.LBB16_20:
	s_load_b32 s0, s[0:1], 0xd4
	v_mov_b32_e32 v4, 1.0
	s_wait_kmcnt 0x0
	s_cmp_lg_u32 s0, 1
	s_cselect_b32 s2, -1, 0
	s_cmp_eq_u32 s0, 1
	s_cselect_b32 s1, -1, 0
	s_and_b32 vcc_lo, exec_lo, s2
	s_cbranch_vccnz .LBB16_22
; %bb.21:
	v_div_scale_f32 v3, null, v0, v0, 1.0
	s_delay_alu instid0(VALU_DEP_1) | instskip(SKIP_1) | instid1(TRANS32_DEP_1)
	v_rcp_f32_e32 v4, v3
	v_nop
	v_fma_f32 v5, -v3, v4, 1.0
	s_delay_alu instid0(VALU_DEP_1) | instskip(SKIP_1) | instid1(VALU_DEP_1)
	v_fmac_f32_e32 v4, v5, v4
	v_div_scale_f32 v5, vcc_lo, 1.0, v0, 1.0
	v_mul_f32_e32 v10, v5, v4
	s_delay_alu instid0(VALU_DEP_1) | instskip(NEXT) | instid1(VALU_DEP_1)
	v_fma_f32 v11, -v3, v10, v5
	v_fmac_f32_e32 v10, v11, v4
	s_delay_alu instid0(VALU_DEP_1) | instskip(NEXT) | instid1(VALU_DEP_1)
	v_fma_f32 v3, -v3, v10, v5
	v_div_fmas_f32 v3, v3, v4, v10
	s_delay_alu instid0(VALU_DEP_1)
	v_div_fixup_f32 v4, v3, v0, 1.0
.LBB16_22:
	v_mad_u32 v3, s28, s22, v38
	v_lshrrev_b32_e32 v5, 16, v9
	v_cvt_f32_f16_e32 v12, v9
	v_cmp_eq_u32_e32 vcc_lo, 0, v21
	v_mov_b32_e32 v11, 0
	s_delay_alu instid0(VALU_DEP_4) | instskip(SKIP_4) | instid1(VALU_DEP_2)
	v_cvt_f32_f16_e32 v13, v5
	s_and_b32 s2, vcc_lo, s2
	v_mad_u32 v2, v3, s23, v2
	v_lshrrev_b32_e32 v3, 16, v8
	v_cvt_f32_f16_e32 v8, v8
	v_cvt_f32_f16_e32 v9, v3
	s_delay_alu instid0(VALU_DEP_1) | instskip(SKIP_1) | instid1(VALU_DEP_1)
	v_pk_mul_f32 v[8:9], v[4:5], v[8:9] op_sel_hi:[0,1]
	v_mad_u32 v2, s0, v2, s31
	v_lshl_add_u32 v10, v2, 7, v39
	s_delay_alu instid0(VALU_DEP_1)
	v_lshl_add_u64 v[14:15], v[10:11], 2, s[16:17]
	v_pk_mul_f32 v[10:11], v[4:5], v[12:13] op_sel_hi:[0,1]
	global_store_b128 v[14:15], v[8:11], off
	s_wait_xcnt 0x0
	s_and_saveexec_b32 s3, s2
	s_cbranch_execz .LBB16_24
; %bb.23:
	v_dual_mov_b32 v4, v36 :: v_dual_mov_b32 v5, v0
	global_store_b64 v2, v[4:5], s[18:19] scale_offset
.LBB16_24:
	s_wait_xcnt 0x0
	s_or_b32 exec_lo, exec_lo, s3
	v_mov_b32_e32 v0, 1.0
	s_and_not1_b32 vcc_lo, exec_lo, s1
	s_cbranch_vccnz .LBB16_26
; %bb.25:
	v_div_scale_f32 v0, null, v1, v1, 1.0
	s_delay_alu instid0(VALU_DEP_1) | instskip(SKIP_1) | instid1(TRANS32_DEP_1)
	v_rcp_f32_e32 v3, v0
	v_nop
	v_fma_f32 v4, -v0, v3, 1.0
	s_delay_alu instid0(VALU_DEP_1) | instskip(SKIP_1) | instid1(VALU_DEP_1)
	v_fmac_f32_e32 v3, v4, v3
	v_div_scale_f32 v4, vcc_lo, 1.0, v1, 1.0
	v_mul_f32_e32 v5, v4, v3
	s_delay_alu instid0(VALU_DEP_1) | instskip(NEXT) | instid1(VALU_DEP_1)
	v_fma_f32 v8, -v0, v5, v4
	v_fmac_f32_e32 v5, v8, v3
	s_delay_alu instid0(VALU_DEP_1) | instskip(NEXT) | instid1(VALU_DEP_1)
	v_fma_f32 v0, -v0, v5, v4
	v_div_fmas_f32 v0, v0, v3, v5
	s_delay_alu instid0(VALU_DEP_1)
	v_div_fixup_f32 v0, v0, v1, 1.0
.LBB16_26:
	v_dual_add_nc_u32 v2, s0, v2 :: v_dual_lshrrev_b32 v3, 16, v7
	v_dual_mov_b32 v5, 0 :: v_dual_lshrrev_b32 v10, 16, v6
	v_cvt_f32_f16_e32 v8, v7
	s_delay_alu instid0(VALU_DEP_3) | instskip(NEXT) | instid1(VALU_DEP_4)
	v_lshl_add_u32 v4, v2, 7, v39
	v_cvt_f32_f16_e32 v9, v3
	v_cvt_f32_f16_e32 v6, v6
	;; [unrolled: 1-line block ×3, first 2 shown]
	s_delay_alu instid0(VALU_DEP_4) | instskip(NEXT) | instid1(VALU_DEP_4)
	v_lshl_add_u64 v[10:11], v[4:5], 2, s[16:17]
	v_pk_mul_f32 v[4:5], v[0:1], v[8:9] op_sel_hi:[0,1]
	s_delay_alu instid0(VALU_DEP_3)
	v_pk_mul_f32 v[6:7], v[0:1], v[6:7] op_sel_hi:[0,1]
	global_store_b128 v[10:11], v[4:7], off
	s_wait_xcnt 0x0
	s_and_saveexec_b32 s0, s2
	s_cbranch_execz .LBB16_28
; %bb.27:
	v_mov_b32_e32 v0, v37
	global_store_b64 v2, v[0:1], s[18:19] scale_offset
.LBB16_28:
	s_sendmsg sendmsg(MSG_DEALLOC_VGPRS)
	s_endpgm
	.section	.rodata,"a",@progbits
	.p2align	6, 0x0
	.amdhsa_kernel _ZL15flash_attn_tileILi192ELi128ELi1ELi8ELb0EEvPKcS1_S1_S1_S1_PKiPfP15HIP_vector_typeIfLj2EEffffjfiS5_IjLj3EEiiiiiiiiiiiliiliiiiil
		.amdhsa_group_segment_fixed_size 8192
		.amdhsa_private_segment_fixed_size 0
		.amdhsa_kernarg_size 464
		.amdhsa_user_sgpr_count 2
		.amdhsa_user_sgpr_dispatch_ptr 0
		.amdhsa_user_sgpr_queue_ptr 0
		.amdhsa_user_sgpr_kernarg_segment_ptr 1
		.amdhsa_user_sgpr_dispatch_id 0
		.amdhsa_user_sgpr_kernarg_preload_length 0
		.amdhsa_user_sgpr_kernarg_preload_offset 0
		.amdhsa_user_sgpr_private_segment_size 0
		.amdhsa_wavefront_size32 1
		.amdhsa_uses_dynamic_stack 0
		.amdhsa_enable_private_segment 0
		.amdhsa_system_sgpr_workgroup_id_x 1
		.amdhsa_system_sgpr_workgroup_id_y 1
		.amdhsa_system_sgpr_workgroup_id_z 1
		.amdhsa_system_sgpr_workgroup_info 0
		.amdhsa_system_vgpr_workitem_id 1
		.amdhsa_next_free_vgpr 70
		.amdhsa_next_free_sgpr 43
		.amdhsa_named_barrier_count 0
		.amdhsa_reserve_vcc 1
		.amdhsa_float_round_mode_32 0
		.amdhsa_float_round_mode_16_64 0
		.amdhsa_float_denorm_mode_32 3
		.amdhsa_float_denorm_mode_16_64 3
		.amdhsa_fp16_overflow 0
		.amdhsa_memory_ordered 1
		.amdhsa_forward_progress 1
		.amdhsa_inst_pref_size 64
		.amdhsa_round_robin_scheduling 0
		.amdhsa_exception_fp_ieee_invalid_op 0
		.amdhsa_exception_fp_denorm_src 0
		.amdhsa_exception_fp_ieee_div_zero 0
		.amdhsa_exception_fp_ieee_overflow 0
		.amdhsa_exception_fp_ieee_underflow 0
		.amdhsa_exception_fp_ieee_inexact 0
		.amdhsa_exception_int_div_zero 0
	.end_amdhsa_kernel
	.section	.text._ZL15flash_attn_tileILi192ELi128ELi1ELi8ELb0EEvPKcS1_S1_S1_S1_PKiPfP15HIP_vector_typeIfLj2EEffffjfiS5_IjLj3EEiiiiiiiiiiiliiliiiiil,"axG",@progbits,_ZL15flash_attn_tileILi192ELi128ELi1ELi8ELb0EEvPKcS1_S1_S1_S1_PKiPfP15HIP_vector_typeIfLj2EEffffjfiS5_IjLj3EEiiiiiiiiiiiliiliiiiil,comdat
.Lfunc_end16:
	.size	_ZL15flash_attn_tileILi192ELi128ELi1ELi8ELb0EEvPKcS1_S1_S1_S1_PKiPfP15HIP_vector_typeIfLj2EEffffjfiS5_IjLj3EEiiiiiiiiiiiliiliiiiil, .Lfunc_end16-_ZL15flash_attn_tileILi192ELi128ELi1ELi8ELb0EEvPKcS1_S1_S1_S1_PKiPfP15HIP_vector_typeIfLj2EEffffjfiS5_IjLj3EEiiiiiiiiiiiliiliiiiil
                                        ; -- End function
	.set _ZL15flash_attn_tileILi192ELi128ELi1ELi8ELb0EEvPKcS1_S1_S1_S1_PKiPfP15HIP_vector_typeIfLj2EEffffjfiS5_IjLj3EEiiiiiiiiiiiliiliiiiil.num_vgpr, 70
	.set _ZL15flash_attn_tileILi192ELi128ELi1ELi8ELb0EEvPKcS1_S1_S1_S1_PKiPfP15HIP_vector_typeIfLj2EEffffjfiS5_IjLj3EEiiiiiiiiiiiliiliiiiil.num_agpr, 0
	.set _ZL15flash_attn_tileILi192ELi128ELi1ELi8ELb0EEvPKcS1_S1_S1_S1_PKiPfP15HIP_vector_typeIfLj2EEffffjfiS5_IjLj3EEiiiiiiiiiiiliiliiiiil.numbered_sgpr, 43
	.set _ZL15flash_attn_tileILi192ELi128ELi1ELi8ELb0EEvPKcS1_S1_S1_S1_PKiPfP15HIP_vector_typeIfLj2EEffffjfiS5_IjLj3EEiiiiiiiiiiiliiliiiiil.num_named_barrier, 0
	.set _ZL15flash_attn_tileILi192ELi128ELi1ELi8ELb0EEvPKcS1_S1_S1_S1_PKiPfP15HIP_vector_typeIfLj2EEffffjfiS5_IjLj3EEiiiiiiiiiiiliiliiiiil.private_seg_size, 0
	.set _ZL15flash_attn_tileILi192ELi128ELi1ELi8ELb0EEvPKcS1_S1_S1_S1_PKiPfP15HIP_vector_typeIfLj2EEffffjfiS5_IjLj3EEiiiiiiiiiiiliiliiiiil.uses_vcc, 1
	.set _ZL15flash_attn_tileILi192ELi128ELi1ELi8ELb0EEvPKcS1_S1_S1_S1_PKiPfP15HIP_vector_typeIfLj2EEffffjfiS5_IjLj3EEiiiiiiiiiiiliiliiiiil.uses_flat_scratch, 0
	.set _ZL15flash_attn_tileILi192ELi128ELi1ELi8ELb0EEvPKcS1_S1_S1_S1_PKiPfP15HIP_vector_typeIfLj2EEffffjfiS5_IjLj3EEiiiiiiiiiiiliiliiiiil.has_dyn_sized_stack, 0
	.set _ZL15flash_attn_tileILi192ELi128ELi1ELi8ELb0EEvPKcS1_S1_S1_S1_PKiPfP15HIP_vector_typeIfLj2EEffffjfiS5_IjLj3EEiiiiiiiiiiiliiliiiiil.has_recursion, 0
	.set _ZL15flash_attn_tileILi192ELi128ELi1ELi8ELb0EEvPKcS1_S1_S1_S1_PKiPfP15HIP_vector_typeIfLj2EEffffjfiS5_IjLj3EEiiiiiiiiiiiliiliiiiil.has_indirect_call, 0
	.section	.AMDGPU.csdata,"",@progbits
; Kernel info:
; codeLenInByte = 8112
; TotalNumSgprs: 45
; NumVgprs: 70
; ScratchSize: 0
; MemoryBound: 0
; FloatMode: 240
; IeeeMode: 1
; LDSByteSize: 8192 bytes/workgroup (compile time only)
; SGPRBlocks: 0
; VGPRBlocks: 4
; NumSGPRsForWavesPerEU: 45
; NumVGPRsForWavesPerEU: 70
; NamedBarCnt: 0
; Occupancy: 12
; WaveLimiterHint : 1
; COMPUTE_PGM_RSRC2:SCRATCH_EN: 0
; COMPUTE_PGM_RSRC2:USER_SGPR: 2
; COMPUTE_PGM_RSRC2:TRAP_HANDLER: 0
; COMPUTE_PGM_RSRC2:TGID_X_EN: 1
; COMPUTE_PGM_RSRC2:TGID_Y_EN: 1
; COMPUTE_PGM_RSRC2:TGID_Z_EN: 1
; COMPUTE_PGM_RSRC2:TIDIG_COMP_CNT: 1
	.section	.text._ZL33flash_attn_stream_k_fixup_uniformILi128ELi1ELi8EEvPfPK15HIP_vector_typeIfLj2EEiiiiiiS1_IjLj3EES5_S5_,"axG",@progbits,_ZL33flash_attn_stream_k_fixup_uniformILi128ELi1ELi8EEvPfPK15HIP_vector_typeIfLj2EEiiiiiiS1_IjLj3EES5_S5_,comdat
	.globl	_ZL33flash_attn_stream_k_fixup_uniformILi128ELi1ELi8EEvPfPK15HIP_vector_typeIfLj2EEiiiiiiS1_IjLj3EES5_S5_ ; -- Begin function _ZL33flash_attn_stream_k_fixup_uniformILi128ELi1ELi8EEvPfPK15HIP_vector_typeIfLj2EEiiiiiiS1_IjLj3EES5_S5_
	.p2align	8
	.type	_ZL33flash_attn_stream_k_fixup_uniformILi128ELi1ELi8EEvPfPK15HIP_vector_typeIfLj2EEiiiiiiS1_IjLj3EES5_S5_,@function
_ZL33flash_attn_stream_k_fixup_uniformILi128ELi1ELi8EEvPfPK15HIP_vector_typeIfLj2EEiiiiiiS1_IjLj3EES5_S5_: ; @_ZL33flash_attn_stream_k_fixup_uniformILi128ELi1ELi8EEvPfPK15HIP_vector_typeIfLj2EEiiiiiiS1_IjLj3EES5_S5_
; %bb.0:
	s_load_b256 s[4:11], s[0:1], 0x1c
	s_bfe_u32 s2, ttmp6, 0x40014
	s_lshr_b32 s3, ttmp7, 16
	s_add_co_i32 s2, s2, 1
	s_bfe_u32 s13, ttmp6, 0x40010
	s_mul_i32 s2, s3, s2
	s_bfe_u32 s12, ttmp6, 0x40008
	s_and_b32 s15, ttmp7, 0xffff
	s_add_co_i32 s13, s13, 1
	s_bfe_u32 s14, ttmp6, 0x4000c
	s_add_co_i32 s12, s12, s2
	s_mul_i32 s2, s15, s13
	s_bfe_u32 s13, ttmp6, 0x40004
	s_add_co_i32 s14, s14, 1
	s_add_co_i32 s13, s13, s2
	s_and_b32 s2, ttmp6, 15
	s_mul_i32 s14, ttmp9, s14
	s_getreg_b32 s20, hwreg(HW_REG_IB_STS2, 6, 4)
	s_add_co_i32 s2, s2, s14
	s_load_b128 s[16:19], s[0:1], 0x3c
	s_cmp_eq_u32 s20, 0
	s_cselect_b32 s14, ttmp9, s2
	s_cselect_b32 s13, s15, s13
	s_wait_kmcnt 0x0
	s_mul_hi_u32 s2, s7, s14
	s_cselect_b32 s12, s3, s12
	s_add_co_i32 s2, s14, s2
	s_delay_alu instid0(SALU_CYCLE_1) | instskip(NEXT) | instid1(SALU_CYCLE_1)
	s_lshr_b32 s7, s2, s8
	s_mul_i32 s2, s7, s9
	s_delay_alu instid0(SALU_CYCLE_1) | instskip(SKIP_2) | instid1(SALU_CYCLE_1)
	s_sub_co_i32 s8, s14, s2
	s_load_b64 s[2:3], s[0:1], 0x10
	s_mul_hi_u32 s9, s8, s10
	s_add_co_i32 s9, s8, s9
	s_delay_alu instid0(SALU_CYCLE_1) | instskip(NEXT) | instid1(SALU_CYCLE_1)
	s_lshr_b32 s15, s9, s11
	s_mul_i32 s9, s15, s16
	s_delay_alu instid0(SALU_CYCLE_1) | instskip(NEXT) | instid1(SALU_CYCLE_1)
	s_sub_co_i32 s8, s8, s9
	s_mul_hi_u32 s9, s8, s17
	s_delay_alu instid0(SALU_CYCLE_1) | instskip(NEXT) | instid1(SALU_CYCLE_1)
	s_add_co_i32 s9, s8, s9
	s_lshr_b32 s9, s9, s18
	s_delay_alu instid0(SALU_CYCLE_1) | instskip(SKIP_2) | instid1(SALU_CYCLE_1)
	s_mul_i32 s10, s9, s19
	s_lshl_b32 s17, s9, 3
	s_sub_co_i32 s16, s8, s10
	s_add_co_i32 s16, s16, s13
	s_wait_kmcnt 0x0
	s_cmp_lt_i32 s16, s2
	s_cselect_b32 s8, -1, 0
	s_add_co_i32 s17, s17, s12
	s_delay_alu instid0(SALU_CYCLE_1) | instskip(SKIP_1) | instid1(SALU_CYCLE_1)
	s_cmp_lt_i32 s17, s5
	s_cselect_b32 s9, -1, 0
	s_and_b32 s8, s8, s9
	s_delay_alu instid0(SALU_CYCLE_1)
	s_and_not1_b32 vcc_lo, exec_lo, s8
	s_cbranch_vccnz .LBB17_6
; %bb.1:
	s_load_b128 s[8:11], s[0:1], 0x0
	s_mul_i32 s7, s7, s2
	s_mul_i32 s15, s15, s5
	s_wait_xcnt 0x0
	s_add_co_i32 s0, s16, s7
	s_add_co_i32 s1, s17, s15
	s_mul_i32 s0, s0, s3
	s_mul_i32 s7, s6, s14
	s_add_co_i32 s1, s1, s0
	s_add_co_i32 s5, s7, s6
	v_lshl_or_b32 v4, s1, 7, v0
	s_add_co_i32 s0, s13, s5
	s_add_co_i32 s2, s5, -2
	s_lshl_b32 s0, s0, 3
	s_delay_alu instid0(SALU_CYCLE_1) | instskip(SKIP_2) | instid1(SALU_CYCLE_1)
	s_add_co_i32 s0, s0, s12
	v_ashrrev_i32_e32 v5, 31, v4
	s_add_co_i32 s0, s0, -8
	s_ashr_i32 s1, s0, 31
	s_delay_alu instid0(SALU_CYCLE_1)
	s_lshl_b64 s[0:1], s[0:1], 3
	s_wait_kmcnt 0x0
	global_load_b32 v3, v4, s[8:9] scale_offset
	s_add_nc_u64 s[0:1], s[10:11], s[0:1]
	s_cmp_lt_i32 s2, s7
	s_load_b32 s15, s[0:1], 0x4
	s_cbranch_scc1 .LBB17_4
; %bb.2:
	s_wait_xcnt 0x0
	s_load_b32 s0, s[0:1], 0x0
	s_add_co_i32 s14, s14, 1
	s_wait_xcnt 0x0
	s_lshl_b32 s1, s12, 7
	s_mul_i32 s3, s6, s14
	s_lshl_b32 s6, s13, 10
	s_lshl_b32 s14, s3, 10
	s_add_co_i32 s1, s1, s6
	s_lshl_b32 s2, s4, 5
	s_add_co_i32 s1, s1, s14
	s_add_co_i32 s4, s13, s4
	s_wait_kmcnt 0x0
	v_dual_mov_b32 v2, s15 :: v_dual_bitop2_b32 v0, s1, v0 bitop3:0x54
	s_add_co_i32 s4, s4, s5
	s_ashr_i32 s3, s2, 31
	s_lshl_b32 s1, s4, 3
	s_delay_alu instid0(VALU_DEP_1)
	v_add_nc_u32_e32 v0, 0xfffff800, v0
	s_lshl_b64 s[2:3], s[2:3], 2
	s_add_co_i32 s4, s12, s1
	s_add_nc_u64 s[2:3], s[10:11], s[2:3]
	s_add_co_i32 s1, s5, -1
	s_add_co_i32 s4, s4, -16
.LBB17_3:                               ; =>This Inner Loop Header: Depth=1
	global_load_b32 v7, v0, s[2:3] scale_offset
	s_ashr_i32 s5, s4, 31
	v_max_num_f32_e64 v1, s0, s0
	s_lshl_b64 s[12:13], s[4:5], 3
	s_delay_alu instid0(SALU_CYCLE_1) | instskip(SKIP_1) | instid1(VALU_DEP_1)
	s_add_nc_u64 s[12:13], s[10:11], s[12:13]
	s_load_b64 s[12:13], s[12:13], 0x0
	v_readfirstlane_b32 s5, v1
	v_add_nc_u32_e32 v0, 0xfffffc00, v0
	s_wait_kmcnt 0x0
	v_max_num_f32_e64 v1, s12, s12
	s_delay_alu instid0(VALU_DEP_1) | instskip(SKIP_1) | instid1(SALU_CYCLE_3)
	v_readfirstlane_b32 s6, v1
	s_max_num_f32 s5, s5, s6
	s_sub_f32 s0, s0, s5
	s_sub_f32 s6, s12, s5
	s_delay_alu instid0(SALU_CYCLE_2) | instskip(NEXT) | instid1(SALU_CYCLE_2)
	s_mul_f32 s12, s0, 0x3fb8aa3b
	s_mul_f32 s14, s6, 0x3fb8aa3b
	s_delay_alu instid0(SALU_CYCLE_2)
	s_xor_b32 s15, s12, 0x80000000
	s_rndne_f32 s16, s12
	s_fmamk_f32 s15, s0, 0x3fb8aa3b, s15
	s_cmp_nlt_f32 s0, 0xc2ce8ed0
	s_rndne_f32 s17, s14
	s_sub_f32 s12, s12, s16
	s_fmamk_f32 s15, s0, 0x32a5705f, s15
	s_cselect_b32 vcc_lo, -1, 0
	s_cmp_ngt_f32 s0, 0x42b17218
	s_delay_alu instid0(SALU_CYCLE_1) | instskip(SKIP_2) | instid1(SALU_CYCLE_1)
	s_add_f32 s12, s12, s15
	s_cvt_i32_f32 s15, s16
	s_sub_f32 s16, s14, s17
	v_s_exp_f32 s12, s12
	v_nop
	s_delay_alu instid0(TRANS32_DEP_1) | instskip(SKIP_1) | instid1(VALU_DEP_1)
	v_ldexp_f32 v1, s12, s15
	s_cvt_i32_f32 s12, s17
	v_cndmask_b32_e32 v1, 0, v1, vcc_lo
	s_cselect_b32 vcc_lo, -1, 0
	s_cmp_ge_f32 s0, 0xc1a00000
	s_delay_alu instid0(VALU_DEP_1)
	v_cndmask_b32_e32 v1, 0x7f800000, v1, vcc_lo
	s_cselect_b32 vcc_lo, -1, 0
	s_xor_b32 s0, s14, 0x80000000
	s_cmp_nlt_f32 s6, 0xc2ce8ed0
	s_fmamk_f32 s0, s6, 0x3fb8aa3b, s0
	v_cndmask_b32_e32 v10, 0, v1, vcc_lo
	s_delay_alu instid0(SALU_CYCLE_2) | instskip(NEXT) | instid1(SALU_CYCLE_3)
	s_fmamk_f32 s0, s6, 0x32a5705f, s0
	s_add_f32 s0, s16, s0
	s_delay_alu instid0(SALU_CYCLE_3) | instskip(SKIP_1) | instid1(TRANS32_DEP_1)
	v_s_exp_f32 s0, s0
	v_nop
	v_ldexp_f32 v6, s0, s12
	s_cselect_b32 s0, -1, 0
	s_cmp_ngt_f32 s6, 0x42b17218
	s_delay_alu instid0(VALU_DEP_1) | instskip(SKIP_2) | instid1(VALU_DEP_1)
	v_cndmask_b32_e64 v6, 0, v6, s0
	s_cselect_b32 s0, -1, 0
	s_cmp_ge_f32 s6, 0xc1a00000
	v_cndmask_b32_e64 v8, 0x7f800000, v6, s0
	s_cselect_b32 s0, -1, 0
	v_mov_b32_e32 v6, s13
	s_add_co_i32 s1, s1, -1
	s_add_co_i32 s4, s4, -8
	v_cndmask_b32_e64 v8, 0, v8, s0
	s_cmp_le_i32 s1, s7
	s_mov_b32 s0, s5
	s_wait_loadcnt 0x0
	s_delay_alu instid0(VALU_DEP_1) | instskip(NEXT) | instid1(VALU_DEP_1)
	v_pk_mul_f32 v[6:7], v[6:7], v[8:9] op_sel_hi:[1,0]
	v_pk_fma_f32 v[2:3], v[2:3], v[10:11], v[6:7] op_sel_hi:[1,0,1]
	s_cbranch_scc0 .LBB17_3
	s_branch .LBB17_5
.LBB17_4:
	s_wait_kmcnt 0x0
	v_mov_b32_e32 v2, s15
.LBB17_5:
	v_lshl_add_u64 v[0:1], v[4:5], 2, s[8:9]
	s_wait_loadcnt 0x0
	s_delay_alu instid0(VALU_DEP_2) | instskip(NEXT) | instid1(VALU_DEP_1)
	v_div_scale_f32 v4, null, v2, v2, v3
	v_rcp_f32_e32 v5, v4
	v_nop
	s_delay_alu instid0(TRANS32_DEP_1) | instskip(NEXT) | instid1(VALU_DEP_1)
	v_fma_f32 v6, -v4, v5, 1.0
	v_fmac_f32_e32 v5, v6, v5
	v_div_scale_f32 v6, vcc_lo, v3, v2, v3
	s_delay_alu instid0(VALU_DEP_1) | instskip(NEXT) | instid1(VALU_DEP_1)
	v_mul_f32_e32 v7, v6, v5
	v_fma_f32 v8, -v4, v7, v6
	s_delay_alu instid0(VALU_DEP_1) | instskip(NEXT) | instid1(VALU_DEP_1)
	v_fmac_f32_e32 v7, v8, v5
	v_fma_f32 v4, -v4, v7, v6
	s_delay_alu instid0(VALU_DEP_1) | instskip(NEXT) | instid1(VALU_DEP_1)
	v_div_fmas_f32 v4, v4, v5, v7
	v_div_fixup_f32 v2, v4, v2, v3
	global_store_b32 v[0:1], v2, off
.LBB17_6:
	s_endpgm
	.section	.rodata,"a",@progbits
	.p2align	6, 0x0
	.amdhsa_kernel _ZL33flash_attn_stream_k_fixup_uniformILi128ELi1ELi8EEvPfPK15HIP_vector_typeIfLj2EEiiiiiiS1_IjLj3EES5_S5_
		.amdhsa_group_segment_fixed_size 0
		.amdhsa_private_segment_fixed_size 0
		.amdhsa_kernarg_size 76
		.amdhsa_user_sgpr_count 2
		.amdhsa_user_sgpr_dispatch_ptr 0
		.amdhsa_user_sgpr_queue_ptr 0
		.amdhsa_user_sgpr_kernarg_segment_ptr 1
		.amdhsa_user_sgpr_dispatch_id 0
		.amdhsa_user_sgpr_kernarg_preload_length 0
		.amdhsa_user_sgpr_kernarg_preload_offset 0
		.amdhsa_user_sgpr_private_segment_size 0
		.amdhsa_wavefront_size32 1
		.amdhsa_uses_dynamic_stack 0
		.amdhsa_enable_private_segment 0
		.amdhsa_system_sgpr_workgroup_id_x 1
		.amdhsa_system_sgpr_workgroup_id_y 1
		.amdhsa_system_sgpr_workgroup_id_z 1
		.amdhsa_system_sgpr_workgroup_info 0
		.amdhsa_system_vgpr_workitem_id 0
		.amdhsa_next_free_vgpr 12
		.amdhsa_next_free_sgpr 21
		.amdhsa_named_barrier_count 0
		.amdhsa_reserve_vcc 1
		.amdhsa_float_round_mode_32 0
		.amdhsa_float_round_mode_16_64 0
		.amdhsa_float_denorm_mode_32 3
		.amdhsa_float_denorm_mode_16_64 3
		.amdhsa_fp16_overflow 0
		.amdhsa_memory_ordered 1
		.amdhsa_forward_progress 1
		.amdhsa_inst_pref_size 9
		.amdhsa_round_robin_scheduling 0
		.amdhsa_exception_fp_ieee_invalid_op 0
		.amdhsa_exception_fp_denorm_src 0
		.amdhsa_exception_fp_ieee_div_zero 0
		.amdhsa_exception_fp_ieee_overflow 0
		.amdhsa_exception_fp_ieee_underflow 0
		.amdhsa_exception_fp_ieee_inexact 0
		.amdhsa_exception_int_div_zero 0
	.end_amdhsa_kernel
	.section	.text._ZL33flash_attn_stream_k_fixup_uniformILi128ELi1ELi8EEvPfPK15HIP_vector_typeIfLj2EEiiiiiiS1_IjLj3EES5_S5_,"axG",@progbits,_ZL33flash_attn_stream_k_fixup_uniformILi128ELi1ELi8EEvPfPK15HIP_vector_typeIfLj2EEiiiiiiS1_IjLj3EES5_S5_,comdat
.Lfunc_end17:
	.size	_ZL33flash_attn_stream_k_fixup_uniformILi128ELi1ELi8EEvPfPK15HIP_vector_typeIfLj2EEiiiiiiS1_IjLj3EES5_S5_, .Lfunc_end17-_ZL33flash_attn_stream_k_fixup_uniformILi128ELi1ELi8EEvPfPK15HIP_vector_typeIfLj2EEiiiiiiS1_IjLj3EES5_S5_
                                        ; -- End function
	.set _ZL33flash_attn_stream_k_fixup_uniformILi128ELi1ELi8EEvPfPK15HIP_vector_typeIfLj2EEiiiiiiS1_IjLj3EES5_S5_.num_vgpr, 12
	.set _ZL33flash_attn_stream_k_fixup_uniformILi128ELi1ELi8EEvPfPK15HIP_vector_typeIfLj2EEiiiiiiS1_IjLj3EES5_S5_.num_agpr, 0
	.set _ZL33flash_attn_stream_k_fixup_uniformILi128ELi1ELi8EEvPfPK15HIP_vector_typeIfLj2EEiiiiiiS1_IjLj3EES5_S5_.numbered_sgpr, 21
	.set _ZL33flash_attn_stream_k_fixup_uniformILi128ELi1ELi8EEvPfPK15HIP_vector_typeIfLj2EEiiiiiiS1_IjLj3EES5_S5_.num_named_barrier, 0
	.set _ZL33flash_attn_stream_k_fixup_uniformILi128ELi1ELi8EEvPfPK15HIP_vector_typeIfLj2EEiiiiiiS1_IjLj3EES5_S5_.private_seg_size, 0
	.set _ZL33flash_attn_stream_k_fixup_uniformILi128ELi1ELi8EEvPfPK15HIP_vector_typeIfLj2EEiiiiiiS1_IjLj3EES5_S5_.uses_vcc, 1
	.set _ZL33flash_attn_stream_k_fixup_uniformILi128ELi1ELi8EEvPfPK15HIP_vector_typeIfLj2EEiiiiiiS1_IjLj3EES5_S5_.uses_flat_scratch, 0
	.set _ZL33flash_attn_stream_k_fixup_uniformILi128ELi1ELi8EEvPfPK15HIP_vector_typeIfLj2EEiiiiiiS1_IjLj3EES5_S5_.has_dyn_sized_stack, 0
	.set _ZL33flash_attn_stream_k_fixup_uniformILi128ELi1ELi8EEvPfPK15HIP_vector_typeIfLj2EEiiiiiiS1_IjLj3EES5_S5_.has_recursion, 0
	.set _ZL33flash_attn_stream_k_fixup_uniformILi128ELi1ELi8EEvPfPK15HIP_vector_typeIfLj2EEiiiiiiS1_IjLj3EES5_S5_.has_indirect_call, 0
	.section	.AMDGPU.csdata,"",@progbits
; Kernel info:
; codeLenInByte = 1072
; TotalNumSgprs: 23
; NumVgprs: 12
; ScratchSize: 0
; MemoryBound: 0
; FloatMode: 240
; IeeeMode: 1
; LDSByteSize: 0 bytes/workgroup (compile time only)
; SGPRBlocks: 0
; VGPRBlocks: 0
; NumSGPRsForWavesPerEU: 23
; NumVGPRsForWavesPerEU: 12
; NamedBarCnt: 0
; Occupancy: 16
; WaveLimiterHint : 0
; COMPUTE_PGM_RSRC2:SCRATCH_EN: 0
; COMPUTE_PGM_RSRC2:USER_SGPR: 2
; COMPUTE_PGM_RSRC2:TRAP_HANDLER: 0
; COMPUTE_PGM_RSRC2:TGID_X_EN: 1
; COMPUTE_PGM_RSRC2:TGID_Y_EN: 1
; COMPUTE_PGM_RSRC2:TGID_Z_EN: 1
; COMPUTE_PGM_RSRC2:TIDIG_COMP_CNT: 0
	.section	.text._ZL33flash_attn_stream_k_fixup_generalILi128ELi1ELi8EEvPfPK15HIP_vector_typeIfLj2EEiiiiS1_IjLj3EES5_S5_S5_,"axG",@progbits,_ZL33flash_attn_stream_k_fixup_generalILi128ELi1ELi8EEvPfPK15HIP_vector_typeIfLj2EEiiiiS1_IjLj3EES5_S5_S5_,comdat
	.globl	_ZL33flash_attn_stream_k_fixup_generalILi128ELi1ELi8EEvPfPK15HIP_vector_typeIfLj2EEiiiiS1_IjLj3EES5_S5_S5_ ; -- Begin function _ZL33flash_attn_stream_k_fixup_generalILi128ELi1ELi8EEvPfPK15HIP_vector_typeIfLj2EEiiiiS1_IjLj3EES5_S5_S5_
	.p2align	8
	.type	_ZL33flash_attn_stream_k_fixup_generalILi128ELi1ELi8EEvPfPK15HIP_vector_typeIfLj2EEiiiiS1_IjLj3EES5_S5_S5_,@function
_ZL33flash_attn_stream_k_fixup_generalILi128ELi1ELi8EEvPfPK15HIP_vector_typeIfLj2EEiiiiS1_IjLj3EES5_S5_S5_: ; @_ZL33flash_attn_stream_k_fixup_generalILi128ELi1ELi8EEvPfPK15HIP_vector_typeIfLj2EEiiiiS1_IjLj3EES5_S5_S5_
; %bb.0:
	s_clause 0x1
	s_load_b128 s[4:7], s[0:1], 0x10
	s_load_b32 s16, s[0:1], 0x50
	s_bfe_u32 s2, ttmp6, 0x4000c
	s_and_b32 s3, ttmp6, 15
	s_add_co_i32 s2, s2, 1
	s_getreg_b32 s15, hwreg(HW_REG_IB_STS2, 6, 4)
	s_mul_i32 s2, ttmp9, s2
	s_mov_b32 s17, 0
	s_add_co_i32 s3, s3, s2
	s_cmp_eq_u32 s15, 0
	s_cselect_b32 s2, ttmp9, s3
	s_delay_alu instid0(SALU_CYCLE_1) | instskip(SKIP_3) | instid1(SALU_CYCLE_1)
	s_ashr_i32 s3, s2, 31
	s_wait_kmcnt 0x0
	s_ashr_i32 s19, s7, 31
	s_mov_b32 s18, s7
	s_mul_u64 s[8:9], s[18:19], s[2:3]
	s_delay_alu instid0(SALU_CYCLE_1) | instskip(NEXT) | instid1(SALU_CYCLE_1)
	s_and_b64 s[10:11], s[8:9], 0xffffffff00000000
	s_cmp_lg_u64 s[10:11], 0
	s_cbranch_scc0 .LBB18_21
; %bb.1:
	s_add_nc_u64 s[10:11], s[16:17], 0
	s_mov_b32 s23, s17
	s_xor_b64 s[10:11], s[10:11], 0
	s_mov_b32 s27, s17
	s_cvt_f32_u32 s3, s10
	s_cvt_f32_u32 s7, s11
	s_sub_nc_u64 s[20:21], 0, s[10:11]
	s_delay_alu instid0(SALU_CYCLE_2) | instskip(NEXT) | instid1(SALU_CYCLE_3)
	s_fmamk_f32 s3, s7, 0x4f800000, s3
	v_s_rcp_f32 s3, s3
	s_delay_alu instid0(TRANS32_DEP_1) | instskip(NEXT) | instid1(SALU_CYCLE_3)
	s_mul_f32 s3, s3, 0x5f7ffffc
	s_mul_f32 s7, s3, 0x2f800000
	s_delay_alu instid0(SALU_CYCLE_3) | instskip(NEXT) | instid1(SALU_CYCLE_3)
	s_trunc_f32 s7, s7
	s_fmamk_f32 s3, s7, 0xcf800000, s3
	s_cvt_u32_f32 s13, s7
	s_delay_alu instid0(SALU_CYCLE_2) | instskip(NEXT) | instid1(SALU_CYCLE_3)
	s_cvt_u32_f32 s12, s3
	s_mul_u64 s[24:25], s[20:21], s[12:13]
	s_delay_alu instid0(SALU_CYCLE_1)
	s_mul_hi_u32 s29, s12, s25
	s_mul_i32 s28, s12, s25
	s_mul_hi_u32 s22, s12, s24
	s_mul_i32 s7, s13, s24
	s_add_nc_u64 s[22:23], s[22:23], s[28:29]
	s_mul_hi_u32 s3, s13, s24
	s_mul_hi_u32 s14, s13, s25
	s_add_co_u32 s7, s22, s7
	s_add_co_ci_u32 s26, s23, s3
	s_mul_i32 s24, s13, s25
	s_add_co_ci_u32 s25, s14, 0
	s_delay_alu instid0(SALU_CYCLE_1) | instskip(SKIP_3) | instid1(SALU_CYCLE_1)
	s_add_nc_u64 s[22:23], s[26:27], s[24:25]
	s_mov_b32 s25, s17
	s_add_co_u32 s12, s12, s22
	s_cselect_b32 s3, -1, 0
	s_cmp_lg_u32 s3, 0
	s_add_co_ci_u32 s13, s13, s23
	s_mov_b32 s23, s17
	s_mul_u64 s[20:21], s[20:21], s[12:13]
	s_delay_alu instid0(SALU_CYCLE_1)
	s_mul_hi_u32 s27, s12, s21
	s_mul_i32 s26, s12, s21
	s_mul_hi_u32 s22, s12, s20
	s_mul_i32 s7, s13, s20
	s_add_nc_u64 s[22:23], s[22:23], s[26:27]
	s_mul_hi_u32 s3, s13, s20
	s_mul_hi_u32 s14, s13, s21
	s_add_co_u32 s7, s22, s7
	s_add_co_ci_u32 s24, s23, s3
	s_mul_i32 s20, s13, s21
	s_add_co_ci_u32 s21, s14, 0
	s_mov_b32 s23, s17
	s_add_nc_u64 s[20:21], s[24:25], s[20:21]
	s_delay_alu instid0(SALU_CYCLE_1) | instskip(SKIP_1) | instid1(SALU_CYCLE_1)
	s_add_co_u32 s3, s12, s20
	s_cselect_b32 s7, -1, 0
	s_cmp_lg_u32 s7, 0
	s_add_co_ci_u32 s7, s13, s21
	s_ashr_i32 s12, s9, 31
	s_delay_alu instid0(SALU_CYCLE_1) | instskip(NEXT) | instid1(SALU_CYCLE_1)
	s_mov_b32 s13, s12
	s_add_nc_u64 s[20:21], s[8:9], s[12:13]
	s_delay_alu instid0(SALU_CYCLE_1) | instskip(NEXT) | instid1(SALU_CYCLE_1)
	s_xor_b64 s[20:21], s[20:21], s[12:13]
	s_mul_hi_u32 s27, s20, s7
	s_mul_i32 s26, s20, s7
	s_mul_hi_u32 s22, s20, s3
	s_mul_hi_u32 s14, s21, s3
	s_mul_i32 s3, s21, s3
	s_add_nc_u64 s[22:23], s[22:23], s[26:27]
	s_mul_hi_u32 s9, s21, s7
	s_add_co_u32 s3, s22, s3
	s_add_co_ci_u32 s24, s23, s14
	s_mul_i32 s26, s21, s7
	s_add_co_ci_u32 s27, s9, 0
	s_delay_alu instid0(SALU_CYCLE_1) | instskip(NEXT) | instid1(SALU_CYCLE_1)
	s_add_nc_u64 s[22:23], s[24:25], s[26:27]
	s_and_b64 s[24:25], s[22:23], 0xffffffff00000000
	s_delay_alu instid0(SALU_CYCLE_1) | instskip(NEXT) | instid1(SALU_CYCLE_1)
	s_or_b32 s24, s24, s22
	s_mul_u64 s[22:23], s[10:11], s[24:25]
	s_add_nc_u64 s[26:27], s[24:25], 1
	s_sub_co_u32 s3, s20, s22
	s_cselect_b32 s7, -1, 0
	s_sub_co_i32 s9, s21, s23
	s_cmp_lg_u32 s7, 0
	s_add_nc_u64 s[28:29], s[24:25], 2
	s_sub_co_ci_u32 s9, s9, s11
	s_sub_co_u32 s14, s3, s10
	s_cselect_b32 s20, -1, 0
	s_delay_alu instid0(SALU_CYCLE_1) | instskip(SKIP_1) | instid1(SALU_CYCLE_1)
	s_cmp_lg_u32 s20, 0
	s_sub_co_ci_u32 s9, s9, 0
	s_cmp_ge_u32 s9, s11
	s_cselect_b32 s20, -1, 0
	s_cmp_ge_u32 s14, s10
	s_cselect_b32 s14, -1, 0
	s_cmp_eq_u32 s9, s11
	s_cselect_b32 s9, s14, s20
	s_delay_alu instid0(SALU_CYCLE_1) | instskip(SKIP_4) | instid1(SALU_CYCLE_1)
	s_cmp_lg_u32 s9, 0
	s_cselect_b32 s9, s28, s26
	s_cselect_b32 s14, s29, s27
	s_cmp_lg_u32 s7, 0
	s_sub_co_ci_u32 s7, s21, s23
	s_cmp_ge_u32 s7, s11
	s_cselect_b32 s20, -1, 0
	s_cmp_ge_u32 s3, s10
	s_cselect_b32 s3, -1, 0
	s_cmp_eq_u32 s7, s11
	s_cselect_b32 s3, s3, s20
	s_delay_alu instid0(SALU_CYCLE_1) | instskip(SKIP_4) | instid1(SALU_CYCLE_1)
	s_cmp_lg_u32 s3, 0
	s_mov_b32 s3, s17
	s_cselect_b32 s11, s14, s25
	s_cselect_b32 s10, s9, s24
	s_xor_b64 s[12:13], s[12:13], 0
	s_xor_b64 s[10:11], s[10:11], s[12:13]
	s_delay_alu instid0(SALU_CYCLE_1)
	s_sub_nc_u64 s[20:21], s[10:11], s[12:13]
	s_and_not1_b32 vcc_lo, exec_lo, s3
	s_cbranch_vccnz .LBB18_3
.LBB18_2:
	v_cvt_f32_u32_e32 v1, s16
	s_sub_co_i32 s7, 0, s16
	s_mov_b32 s21, 0
	s_delay_alu instid0(VALU_DEP_1) | instskip(SKIP_1) | instid1(TRANS32_DEP_1)
	v_rcp_iflag_f32_e32 v1, v1
	v_nop
	v_mul_f32_e32 v1, 0x4f7ffffe, v1
	s_delay_alu instid0(VALU_DEP_1) | instskip(NEXT) | instid1(VALU_DEP_1)
	v_cvt_u32_f32_e32 v1, v1
	v_readfirstlane_b32 s3, v1
	s_mul_i32 s7, s7, s3
	s_delay_alu instid0(SALU_CYCLE_1) | instskip(NEXT) | instid1(SALU_CYCLE_1)
	s_mul_hi_u32 s7, s3, s7
	s_add_co_i32 s3, s3, s7
	s_delay_alu instid0(SALU_CYCLE_1) | instskip(NEXT) | instid1(SALU_CYCLE_1)
	s_mul_hi_u32 s3, s8, s3
	s_mul_i32 s7, s3, s16
	s_delay_alu instid0(SALU_CYCLE_1)
	s_sub_co_i32 s7, s8, s7
	s_add_co_i32 s8, s3, 1
	s_sub_co_i32 s9, s7, s16
	s_cmp_ge_u32 s7, s16
	s_cselect_b32 s3, s8, s3
	s_cselect_b32 s7, s9, s7
	s_add_co_i32 s8, s3, 1
	s_cmp_ge_u32 s7, s16
	s_cselect_b32 s20, s8, s3
.LBB18_3:
	s_add_co_i32 s8, s2, 1
	s_delay_alu instid0(SALU_CYCLE_1) | instskip(NEXT) | instid1(SALU_CYCLE_1)
	s_ashr_i32 s9, s8, 31
	s_mul_u64 s[8:9], s[18:19], s[8:9]
	s_delay_alu instid0(SALU_CYCLE_1) | instskip(NEXT) | instid1(SALU_CYCLE_1)
	s_and_b64 s[10:11], s[8:9], 0xffffffff00000000
	s_cmp_lg_u64 s[10:11], 0
	s_cbranch_scc0 .LBB18_22
; %bb.4:
	s_add_nc_u64 s[10:11], s[16:17], 0
	s_delay_alu instid0(SALU_CYCLE_1) | instskip(SKIP_4) | instid1(SALU_CYCLE_2)
	s_xor_b64 s[12:13], s[10:11], 0
	s_mov_b32 s11, 0
	s_cvt_f32_u32 s3, s12
	s_cvt_f32_u32 s7, s13
	s_sub_nc_u64 s[24:25], 0, s[12:13]
	s_fmamk_f32 s3, s7, 0x4f800000, s3
	s_delay_alu instid0(SALU_CYCLE_3) | instskip(NEXT) | instid1(TRANS32_DEP_1)
	v_s_rcp_f32 s3, s3
	s_mul_f32 s3, s3, 0x5f7ffffc
	s_delay_alu instid0(SALU_CYCLE_3) | instskip(NEXT) | instid1(SALU_CYCLE_3)
	s_mul_f32 s7, s3, 0x2f800000
	s_trunc_f32 s7, s7
	s_delay_alu instid0(SALU_CYCLE_3) | instskip(SKIP_1) | instid1(SALU_CYCLE_2)
	s_fmamk_f32 s3, s7, 0xcf800000, s3
	s_cvt_u32_f32 s23, s7
	s_cvt_u32_f32 s22, s3
	s_delay_alu instid0(SALU_CYCLE_3) | instskip(NEXT) | instid1(SALU_CYCLE_1)
	s_mul_u64 s[26:27], s[24:25], s[22:23]
	s_mul_hi_u32 s29, s22, s27
	s_mul_i32 s28, s22, s27
	s_mul_hi_u32 s10, s22, s26
	s_mul_i32 s7, s23, s26
	s_add_nc_u64 s[28:29], s[10:11], s[28:29]
	s_mul_hi_u32 s3, s23, s26
	s_mul_hi_u32 s14, s23, s27
	s_add_co_u32 s7, s28, s7
	s_add_co_ci_u32 s10, s29, s3
	s_mul_i32 s26, s23, s27
	s_add_co_ci_u32 s27, s14, 0
	s_delay_alu instid0(SALU_CYCLE_1) | instskip(NEXT) | instid1(SALU_CYCLE_1)
	s_add_nc_u64 s[26:27], s[10:11], s[26:27]
	s_add_co_u32 s22, s22, s26
	s_cselect_b32 s3, -1, 0
	s_delay_alu instid0(SALU_CYCLE_1) | instskip(SKIP_1) | instid1(SALU_CYCLE_1)
	s_cmp_lg_u32 s3, 0
	s_add_co_ci_u32 s23, s23, s27
	s_mul_u64 s[24:25], s[24:25], s[22:23]
	s_delay_alu instid0(SALU_CYCLE_1)
	s_mul_hi_u32 s27, s22, s25
	s_mul_i32 s26, s22, s25
	s_mul_hi_u32 s10, s22, s24
	s_mul_i32 s7, s23, s24
	s_add_nc_u64 s[26:27], s[10:11], s[26:27]
	s_mul_hi_u32 s3, s23, s24
	s_mul_hi_u32 s14, s23, s25
	s_add_co_u32 s7, s26, s7
	s_add_co_ci_u32 s10, s27, s3
	s_mul_i32 s24, s23, s25
	s_add_co_ci_u32 s25, s14, 0
	s_delay_alu instid0(SALU_CYCLE_1) | instskip(NEXT) | instid1(SALU_CYCLE_1)
	s_add_nc_u64 s[24:25], s[10:11], s[24:25]
	s_add_co_u32 s3, s22, s24
	s_cselect_b32 s7, -1, 0
	s_delay_alu instid0(SALU_CYCLE_1) | instskip(SKIP_2) | instid1(SALU_CYCLE_1)
	s_cmp_lg_u32 s7, 0
	s_add_co_ci_u32 s7, s23, s25
	s_ashr_i32 s22, s9, 31
	s_mov_b32 s23, s22
	s_delay_alu instid0(SALU_CYCLE_1) | instskip(NEXT) | instid1(SALU_CYCLE_1)
	s_add_nc_u64 s[24:25], s[8:9], s[22:23]
	s_xor_b64 s[24:25], s[24:25], s[22:23]
	s_delay_alu instid0(SALU_CYCLE_1)
	s_mul_hi_u32 s27, s24, s7
	s_mul_i32 s26, s24, s7
	s_mul_hi_u32 s10, s24, s3
	s_mul_hi_u32 s14, s25, s3
	s_mul_i32 s3, s25, s3
	s_add_nc_u64 s[26:27], s[10:11], s[26:27]
	s_mul_hi_u32 s9, s25, s7
	s_add_co_u32 s3, s26, s3
	s_add_co_ci_u32 s10, s27, s14
	s_mul_i32 s28, s25, s7
	s_add_co_ci_u32 s29, s9, 0
	s_delay_alu instid0(SALU_CYCLE_1) | instskip(NEXT) | instid1(SALU_CYCLE_1)
	s_add_nc_u64 s[26:27], s[10:11], s[28:29]
	s_and_b64 s[28:29], s[26:27], 0xffffffff00000000
	s_delay_alu instid0(SALU_CYCLE_1) | instskip(NEXT) | instid1(SALU_CYCLE_1)
	s_or_b32 s28, s28, s26
	s_mul_u64 s[26:27], s[12:13], s[28:29]
	s_add_nc_u64 s[30:31], s[28:29], 1
	s_sub_co_u32 s3, s24, s26
	s_cselect_b32 s7, -1, 0
	s_sub_co_i32 s9, s25, s27
	s_cmp_lg_u32 s7, 0
	s_add_nc_u64 s[34:35], s[28:29], 2
	s_sub_co_ci_u32 s9, s9, s13
	s_sub_co_u32 s10, s3, s12
	s_cselect_b32 s14, -1, 0
	s_delay_alu instid0(SALU_CYCLE_1) | instskip(SKIP_1) | instid1(SALU_CYCLE_1)
	s_cmp_lg_u32 s14, 0
	s_sub_co_ci_u32 s9, s9, 0
	s_cmp_ge_u32 s9, s13
	s_cselect_b32 s14, -1, 0
	s_cmp_ge_u32 s10, s12
	s_cselect_b32 s10, -1, 0
	s_cmp_eq_u32 s9, s13
	s_cselect_b32 s9, s10, s14
	s_delay_alu instid0(SALU_CYCLE_1) | instskip(SKIP_4) | instid1(SALU_CYCLE_1)
	s_cmp_lg_u32 s9, 0
	s_cselect_b32 s9, s34, s30
	s_cselect_b32 s10, s35, s31
	s_cmp_lg_u32 s7, 0
	s_sub_co_ci_u32 s7, s25, s27
	s_cmp_ge_u32 s7, s13
	s_cselect_b32 s14, -1, 0
	s_cmp_ge_u32 s3, s12
	s_cselect_b32 s3, -1, 0
	s_cmp_eq_u32 s7, s13
	s_cselect_b32 s3, s3, s14
	s_delay_alu instid0(SALU_CYCLE_1) | instskip(SKIP_3) | instid1(SALU_CYCLE_1)
	s_cmp_lg_u32 s3, 0
	s_cselect_b32 s13, s10, s29
	s_cselect_b32 s12, s9, s28
	s_xor_b64 s[22:23], s[22:23], 0
	s_xor_b64 s[12:13], s[12:13], s[22:23]
	s_delay_alu instid0(SALU_CYCLE_1)
	s_sub_nc_u64 s[24:25], s[12:13], s[22:23]
	s_load_b96 s[12:14], s[0:1], 0x44
	s_cbranch_execnz .LBB18_6
.LBB18_5:
	v_cvt_f32_u32_e32 v1, s16
	s_sub_co_i32 s7, 0, s16
	s_delay_alu instid0(VALU_DEP_1) | instskip(SKIP_1) | instid1(TRANS32_DEP_1)
	v_rcp_iflag_f32_e32 v1, v1
	v_nop
	v_mul_f32_e32 v1, 0x4f7ffffe, v1
	s_delay_alu instid0(VALU_DEP_1) | instskip(NEXT) | instid1(VALU_DEP_1)
	v_cvt_u32_f32_e32 v1, v1
	v_readfirstlane_b32 s3, v1
	s_mul_i32 s7, s7, s3
	s_delay_alu instid0(SALU_CYCLE_1) | instskip(NEXT) | instid1(SALU_CYCLE_1)
	s_mul_hi_u32 s7, s3, s7
	s_add_co_i32 s3, s3, s7
	s_delay_alu instid0(SALU_CYCLE_1) | instskip(NEXT) | instid1(SALU_CYCLE_1)
	s_mul_hi_u32 s3, s8, s3
	s_mul_i32 s7, s3, s16
	s_delay_alu instid0(SALU_CYCLE_1)
	s_sub_co_i32 s7, s8, s7
	s_add_co_i32 s8, s3, 1
	s_sub_co_i32 s9, s7, s16
	s_cmp_ge_u32 s7, s16
	s_cselect_b32 s3, s8, s3
	s_cselect_b32 s7, s9, s7
	s_add_co_i32 s8, s3, 1
	s_cmp_ge_u32 s7, s16
	s_cselect_b32 s24, s8, s3
.LBB18_6:
	s_delay_alu instid0(SALU_CYCLE_1)
	s_cmp_eq_u32 s20, s24
	s_mov_b64 s[8:9], 0xffffffff
	s_cselect_b32 s3, -1, 0
	s_and_b64 s[8:9], s[20:21], s[8:9]
	s_mov_b32 s23, 0
	s_wait_kmcnt 0x0
	s_mov_b32 s22, s12
	s_mov_b32 s25, s23
	s_mul_u64 s[10:11], s[8:9], s[22:23]
	s_delay_alu instid0(SALU_CYCLE_1) | instskip(SKIP_2) | instid1(SALU_CYCLE_1)
	s_add_co_i32 s7, s11, s20
	s_mul_u64 s[10:11], s[24:25], s[22:23]
	s_lshr_b32 s12, s7, s13
	s_mul_i32 s7, s12, s14
	s_delay_alu instid0(SALU_CYCLE_1) | instskip(SKIP_2) | instid1(SALU_CYCLE_1)
	s_cmp_eq_u32 s7, s20
	s_cselect_b32 s7, -1, 0
	s_add_co_i32 s10, s11, s24
	s_lshr_b32 s10, s10, s13
	s_delay_alu instid0(SALU_CYCLE_1)
	s_cmp_eq_u32 s12, s10
	s_mul_i32 s10, s10, s14
	s_cselect_b32 s11, -1, 0
	s_cmp_lg_u32 s10, s24
	s_cselect_b32 s10, -1, 0
	s_or_b32 s3, s3, s7
	s_and_b32 s10, s11, s10
	s_delay_alu instid0(SALU_CYCLE_1) | instskip(NEXT) | instid1(SALU_CYCLE_1)
	s_or_b32 s3, s3, s10
	s_and_b32 vcc_lo, exec_lo, s3
	s_cbranch_vccnz .LBB18_24
; %bb.7:
	s_load_b256 s[24:31], s[0:1], 0x20
	s_bfe_u32 s7, ttmp6, 0x40014
	s_bfe_u32 s33, ttmp6, 0x40010
	s_lshr_b32 s3, ttmp7, 16
	s_add_co_i32 s7, s7, 1
	s_and_b32 s21, ttmp7, 0xffff
	s_add_co_i32 s33, s33, 1
	s_bfe_u32 s10, ttmp6, 0x40008
	s_mul_i32 s7, s3, s7
	s_bfe_u32 s34, ttmp6, 0x40004
	s_mul_i32 s33, s21, s33
	s_mov_b32 s11, s23
	s_add_co_i32 s7, s10, s7
	s_add_co_i32 s34, s34, s33
	s_cmp_eq_u32 s15, 0
	s_cselect_b32 s15, s21, s34
	s_cselect_b32 s21, s3, s7
	s_wait_kmcnt 0x0
	s_mov_b32 s10, s24
	s_delay_alu instid0(SALU_CYCLE_1) | instskip(SKIP_2) | instid1(SALU_CYCLE_1)
	s_mul_u64 s[8:9], s[8:9], s[10:11]
	s_load_b32 s8, s[0:1], 0x40
	s_add_co_i32 s3, s9, s20
	s_lshr_b32 s3, s3, s25
	s_delay_alu instid0(SALU_CYCLE_1) | instskip(NEXT) | instid1(SALU_CYCLE_1)
	s_mul_i32 s7, s3, s26
	s_sub_co_i32 s9, s20, s7
	s_delay_alu instid0(SALU_CYCLE_1) | instskip(NEXT) | instid1(SALU_CYCLE_1)
	s_mul_hi_u32 s7, s9, s27
	s_add_co_i32 s7, s9, s7
	s_delay_alu instid0(SALU_CYCLE_1) | instskip(NEXT) | instid1(SALU_CYCLE_1)
	s_lshr_b32 s7, s7, s28
	s_mul_i32 s10, s7, s29
	s_delay_alu instid0(SALU_CYCLE_1) | instskip(NEXT) | instid1(SALU_CYCLE_1)
	s_sub_co_i32 s10, s9, s10
	s_mul_hi_u32 s9, s10, s30
	s_delay_alu instid0(SALU_CYCLE_1) | instskip(NEXT) | instid1(SALU_CYCLE_1)
	s_add_co_i32 s9, s10, s9
	s_lshr_b32 s25, s9, s31
	s_mov_b32 s9, s23
	s_wait_kmcnt 0x0
	s_mul_i32 s8, s25, s8
	s_lshl_b32 s25, s25, 3
	s_sub_co_i32 s8, s10, s8
	s_delay_alu instid0(SALU_CYCLE_1) | instskip(NEXT) | instid1(SALU_CYCLE_1)
	s_mul_u64 s[10:11], s[8:9], s[22:23]
	s_add_co_i32 s8, s8, s11
	s_delay_alu instid0(SALU_CYCLE_1) | instskip(NEXT) | instid1(SALU_CYCLE_1)
	s_lshr_b32 s24, s8, s13
	s_add_co_i32 s24, s24, s15
	s_delay_alu instid0(SALU_CYCLE_1) | instskip(SKIP_2) | instid1(SALU_CYCLE_1)
	s_cmp_lt_i32 s24, s4
	s_cselect_b32 s8, -1, 0
	s_add_co_i32 s25, s25, s21
	s_cmp_lt_i32 s25, s6
	s_cselect_b32 s9, -1, 0
	s_delay_alu instid0(SALU_CYCLE_1) | instskip(NEXT) | instid1(SALU_CYCLE_1)
	s_and_b32 s8, s8, s9
	s_and_not1_b32 vcc_lo, exec_lo, s8
	s_cbranch_vccnz .LBB18_24
; %bb.8:
	s_load_b128 s[8:11], s[0:1], 0x0
	s_mul_i32 s3, s3, s4
	s_mul_i32 s7, s7, s6
	s_wait_xcnt 0x0
	s_add_co_i32 s0, s24, s3
	s_add_co_i32 s1, s25, s7
	s_mul_i32 s0, s0, s5
	s_add_co_i32 s3, s15, s2
	s_add_co_i32 s1, s1, s0
	v_cvt_f32_u32_e32 v4, s16
	v_lshl_or_b32 v2, s1, 7, v0
	s_add_nc_u64 s[0:1], s[16:17], 0
	s_lshl_b32 s24, s16, 5
	s_xor_b64 s[6:7], s[0:1], 0
	s_lshl_b32 s0, s3, 3
	s_cvt_f32_u32 s3, s6
	s_cvt_f32_u32 s4, s7
	s_add_co_i32 s0, s0, s21
	v_rcp_iflag_f32_e32 v4, v4
	s_ashr_i32 s1, s0, 31
	s_fmamk_f32 s3, s4, 0x4f800000, s3
	s_wait_kmcnt 0x0
	global_load_b32 v1, v2, s[8:9] scale_offset
	s_lshl_b64 s[0:1], s[0:1], 3
	s_mov_b32 s25, 0
	v_s_rcp_f32 s3, s3
	s_add_nc_u64 s[0:1], s[10:11], s[0:1]
	v_dual_mul_f32 v4, 0x4f7ffffe, v4 :: v_dual_ashrrev_i32 v3, 31, v2
	s_load_b64 s[28:29], s[0:1], 0x0
	s_wait_xcnt 0x0
	s_lshl_b64 s[0:1], s[24:25], 2
	v_lshl_or_b32 v6, s21, 7, v0
	s_add_nc_u64 s[26:27], s[10:11], s[0:1]
	s_mul_f32 s3, s3, 0x5f7ffffc
	v_lshl_add_u64 v[2:3], v[2:3], 2, s[8:9]
	v_cvt_u32_f32_e32 v7, v4
	s_mov_b64 s[8:9], 0xffffffff
	s_mul_f32 s4, s3, 0x2f800000
	s_add_co_i32 s36, s2, -1
	s_sub_nc_u64 s[34:35], 0, s[6:7]
	s_delay_alu instid0(SALU_CYCLE_1) | instskip(NEXT) | instid1(SALU_CYCLE_3)
	s_trunc_f32 s4, s4
	s_fmamk_f32 s0, s4, 0xcf800000, s3
	s_cvt_u32_f32 s31, s4
	s_wait_kmcnt 0x0
	v_mov_b32_e32 v0, s29
	s_cvt_u32_f32 s30, s0
.LBB18_9:                               ; =>This Inner Loop Header: Depth=1
	s_ashr_i32 s37, s36, 31
                                        ; implicit-def: $sgpr40_sgpr41
	s_delay_alu instid0(SALU_CYCLE_1) | instskip(NEXT) | instid1(SALU_CYCLE_1)
	s_mul_u64 s[0:1], s[36:37], s[18:19]
	s_and_b64 s[2:3], s[0:1], 0xffffffff00000000
	s_delay_alu instid0(SALU_CYCLE_1)
	s_cmp_lg_u64 s[2:3], 0
	s_mov_b32 s2, -1
	s_cbranch_scc0 .LBB18_11
; %bb.10:                               ;   in Loop: Header=BB18_9 Depth=1
	s_mul_u64 s[2:3], s[34:35], s[30:31]
	s_delay_alu instid0(SALU_CYCLE_1)
	s_mul_hi_u32 s5, s30, s3
	s_mul_i32 s4, s30, s3
	s_mul_hi_u32 s24, s30, s2
	s_mul_hi_u32 s17, s31, s2
	s_add_nc_u64 s[4:5], s[24:25], s[4:5]
	s_mul_i32 s2, s31, s2
	s_mul_hi_u32 s29, s31, s3
	s_add_co_u32 s2, s4, s2
	s_add_co_ci_u32 s24, s5, s17
	s_add_co_ci_u32 s5, s29, 0
	s_mul_i32 s4, s31, s3
	s_delay_alu instid0(SALU_CYCLE_1) | instskip(NEXT) | instid1(SALU_CYCLE_1)
	s_add_nc_u64 s[2:3], s[24:25], s[4:5]
	s_add_co_u32 s2, s30, s2
	s_cselect_b32 s4, -1, 0
	s_delay_alu instid0(SALU_CYCLE_1) | instskip(SKIP_1) | instid1(SALU_CYCLE_1)
	s_cmp_lg_u32 s4, 0
	s_add_co_ci_u32 s3, s31, s3
	s_mul_u64 s[4:5], s[34:35], s[2:3]
	s_delay_alu instid0(SALU_CYCLE_1)
	s_mul_hi_u32 s39, s2, s5
	s_mul_i32 s38, s2, s5
	s_mul_hi_u32 s24, s2, s4
	s_mul_hi_u32 s17, s3, s4
	s_mul_i32 s4, s3, s4
	s_add_nc_u64 s[38:39], s[24:25], s[38:39]
	s_mul_hi_u32 s29, s3, s5
	s_add_co_u32 s4, s38, s4
	s_add_co_ci_u32 s24, s39, s17
	s_mul_i32 s4, s3, s5
	s_add_co_ci_u32 s5, s29, 0
	s_delay_alu instid0(SALU_CYCLE_1) | instskip(NEXT) | instid1(SALU_CYCLE_1)
	s_add_nc_u64 s[4:5], s[24:25], s[4:5]
	s_add_co_u32 s17, s2, s4
	s_cselect_b32 s2, -1, 0
	s_delay_alu instid0(SALU_CYCLE_1) | instskip(SKIP_2) | instid1(SALU_CYCLE_1)
	s_cmp_lg_u32 s2, 0
	s_add_co_ci_u32 s29, s3, s5
	s_ashr_i32 s2, s1, 31
	s_mov_b32 s3, s2
	s_delay_alu instid0(SALU_CYCLE_1) | instskip(NEXT) | instid1(SALU_CYCLE_1)
	s_add_nc_u64 s[4:5], s[0:1], s[2:3]
	s_xor_b64 s[4:5], s[4:5], s[2:3]
	s_delay_alu instid0(SALU_CYCLE_1)
	s_mul_hi_u32 s39, s4, s29
	s_mul_i32 s38, s4, s29
	s_mul_hi_u32 s24, s4, s17
	s_mul_hi_u32 s33, s5, s17
	s_mul_i32 s17, s5, s17
	s_add_nc_u64 s[38:39], s[24:25], s[38:39]
	s_mul_hi_u32 s1, s5, s29
	s_add_co_u32 s17, s38, s17
	s_add_co_ci_u32 s24, s39, s33
	s_mul_i32 s40, s5, s29
	s_add_co_ci_u32 s41, s1, 0
	s_delay_alu instid0(SALU_CYCLE_1) | instskip(NEXT) | instid1(SALU_CYCLE_1)
	s_add_nc_u64 s[38:39], s[24:25], s[40:41]
	s_and_b64 s[40:41], s[38:39], 0xffffffff00000000
	s_delay_alu instid0(SALU_CYCLE_1) | instskip(NEXT) | instid1(SALU_CYCLE_1)
	s_or_b32 s40, s40, s38
	s_mul_u64 s[38:39], s[6:7], s[40:41]
	s_add_nc_u64 s[42:43], s[40:41], 1
	s_sub_co_u32 s1, s4, s38
	s_cselect_b32 s4, -1, 0
	s_sub_co_i32 s17, s5, s39
	s_cmp_lg_u32 s4, 0
	s_add_nc_u64 s[44:45], s[40:41], 2
	s_sub_co_ci_u32 s17, s17, s7
	s_sub_co_u32 s24, s1, s6
	s_cselect_b32 s29, -1, 0
	s_delay_alu instid0(SALU_CYCLE_1) | instskip(SKIP_1) | instid1(SALU_CYCLE_1)
	s_cmp_lg_u32 s29, 0
	s_sub_co_ci_u32 s17, s17, 0
	s_cmp_ge_u32 s17, s7
	s_cselect_b32 s29, -1, 0
	s_cmp_ge_u32 s24, s6
	s_cselect_b32 s24, -1, 0
	s_cmp_eq_u32 s17, s7
	s_cselect_b32 s17, s24, s29
	s_delay_alu instid0(SALU_CYCLE_1) | instskip(SKIP_4) | instid1(SALU_CYCLE_1)
	s_cmp_lg_u32 s17, 0
	s_cselect_b32 s17, s44, s42
	s_cselect_b32 s24, s45, s43
	s_cmp_lg_u32 s4, 0
	s_sub_co_ci_u32 s4, s5, s39
	s_cmp_ge_u32 s4, s7
	s_cselect_b32 s5, -1, 0
	s_cmp_ge_u32 s1, s6
	s_cselect_b32 s1, -1, 0
	s_cmp_eq_u32 s4, s7
	s_cselect_b32 s1, s1, s5
	s_delay_alu instid0(SALU_CYCLE_1) | instskip(SKIP_3) | instid1(SALU_CYCLE_1)
	s_cmp_lg_u32 s1, 0
	s_cselect_b32 s5, s24, s41
	s_cselect_b32 s4, s17, s40
	s_xor_b64 s[2:3], s[2:3], 0
	s_xor_b64 s[4:5], s[4:5], s[2:3]
	s_delay_alu instid0(SALU_CYCLE_1)
	s_sub_nc_u64 s[40:41], s[4:5], s[2:3]
	s_mov_b32 s2, 0
.LBB18_11:                              ;   in Loop: Header=BB18_9 Depth=1
	s_delay_alu instid0(SALU_CYCLE_1)
	s_and_not1_b32 vcc_lo, exec_lo, s2
	s_cbranch_vccnz .LBB18_13
; %bb.12:                               ;   in Loop: Header=BB18_9 Depth=1
	v_readfirstlane_b32 s1, v7
	s_sub_co_i32 s2, 0, s16
	s_delay_alu instid0(SALU_CYCLE_1) | instskip(NEXT) | instid1(SALU_CYCLE_1)
	s_mul_i32 s2, s2, s1
	s_mul_hi_u32 s2, s1, s2
	s_delay_alu instid0(SALU_CYCLE_1) | instskip(NEXT) | instid1(SALU_CYCLE_1)
	s_add_co_i32 s1, s1, s2
	s_mul_hi_u32 s1, s0, s1
	s_delay_alu instid0(SALU_CYCLE_1) | instskip(NEXT) | instid1(SALU_CYCLE_1)
	s_mul_i32 s2, s1, s16
	s_sub_co_i32 s0, s0, s2
	s_add_co_i32 s2, s1, 1
	s_sub_co_i32 s3, s0, s16
	s_cmp_ge_u32 s0, s16
	s_cselect_b32 s1, s2, s1
	s_cselect_b32 s0, s3, s0
	s_add_co_i32 s2, s1, 1
	s_cmp_ge_u32 s0, s16
	s_cselect_b32 s24, s2, s1
	s_delay_alu instid0(SALU_CYCLE_1)
	s_mov_b64 s[40:41], s[24:25]
.LBB18_13:                              ;   in Loop: Header=BB18_9 Depth=1
	s_delay_alu instid0(SALU_CYCLE_1)
	s_cmp_lg_u32 s20, s40
	s_mov_b32 s0, -1
                                        ; implicit-def: $vgpr4_vgpr5
                                        ; implicit-def: $sgpr29
                                        ; implicit-def: $sgpr17
                                        ; implicit-def: $sgpr24
                                        ; implicit-def: $sgpr33
	s_cbranch_scc0 .LBB18_18
; %bb.14:                               ;   in Loop: Header=BB18_9 Depth=1
	s_add_co_i32 s42, s36, s15
	v_max_num_f32_e64 v4, s28, s28
	s_add_co_i32 s0, s42, s16
	s_mov_b32 s33, s20
	s_lshl_b32 s0, s0, 3
	s_delay_alu instid0(SALU_CYCLE_1)
	s_add_co_i32 s0, s0, s21
	s_load_b64 s[38:39], s[10:11], s0 offset:0x0 scale_offset
	s_wait_xcnt 0x0
	v_readfirstlane_b32 s0, v4
	s_wait_kmcnt 0x0
	v_max_num_f32_e64 v5, s38, s38
	s_delay_alu instid0(VALU_DEP_1) | instskip(SKIP_1) | instid1(SALU_CYCLE_3)
	v_readfirstlane_b32 s1, v5
	s_max_num_f32 s17, s0, s1
	s_sub_f32 s37, s28, s17
	s_sub_f32 s38, s38, s17
	s_delay_alu instid0(SALU_CYCLE_2)
	s_cmp_nlt_f32 s37, 0xc2ce8ed0
	s_cselect_b32 s1, -1, 0
	s_cmp_ngt_f32 s37, 0x42b17218
	s_cselect_b32 s2, -1, 0
	s_cmp_ge_f32 s37, 0xc1a00000
	s_cselect_b32 s0, -1, 0
	s_cmp_nlt_f32 s38, 0xc2ce8ed0
	s_cselect_b32 s3, -1, 0
	s_cmp_ngt_f32 s38, 0x42b17218
	s_cselect_b32 s4, -1, 0
	s_cmp_ge_f32 s38, 0xc1a00000
	s_cselect_b32 s5, -1, 0
	s_and_b64 s[44:45], s[40:41], s[8:9]
	s_delay_alu instid0(SALU_CYCLE_1) | instskip(NEXT) | instid1(SALU_CYCLE_1)
	s_mul_u64 s[44:45], s[44:45], s[22:23]
	s_add_co_i32 s24, s45, s40
	s_delay_alu instid0(SALU_CYCLE_1) | instskip(NEXT) | instid1(SALU_CYCLE_1)
	s_lshr_b32 s24, s24, s13
	s_mul_i32 s29, s24, s14
	s_delay_alu instid0(SALU_CYCLE_1) | instskip(SKIP_3) | instid1(SALU_CYCLE_1)
	s_cmp_eq_u32 s29, s40
	s_cselect_b32 s29, -1, 0
	s_cmp_lt_u32 s24, s12
	s_cselect_b32 s24, -1, 0
	s_or_b32 s24, s24, s29
	s_mov_b32 s29, -1
	s_and_b32 vcc_lo, exec_lo, s24
	s_mov_b32 s24, s36
	s_cbranch_vccnz .LBB18_16
; %bb.15:                               ;   in Loop: Header=BB18_9 Depth=1
	s_add_co_i32 s24, s36, -1
	s_mov_b32 s29, 0
	s_mov_b32 s33, s40
.LBB18_16:                              ;   in Loop: Header=BB18_9 Depth=1
	v_lshl_add_u32 v4, s42, 10, v6
	s_mul_f32 s41, s37, 0x3fb8aa3b
	s_mul_f32 s40, s38, 0x3fb8aa3b
	s_delay_alu instid0(SALU_CYCLE_2)
	s_xor_b32 s43, s41, 0x80000000
	global_load_b32 v5, v4, s[26:27] scale_offset
	s_fmamk_f32 s43, s37, 0x3fb8aa3b, s43
	s_rndne_f32 s45, s41
	s_xor_b32 s42, s40, 0x80000000
	s_rndne_f32 s44, s40
	s_fmamk_f32 s37, s37, 0x32a5705f, s43
	s_sub_f32 s41, s41, s45
	s_fmamk_f32 s42, s38, 0x3fb8aa3b, s42
	s_sub_f32 s40, s40, s44
	s_delay_alu instid0(SALU_CYCLE_1) | instskip(NEXT) | instid1(SALU_CYCLE_1)
	s_add_f32 s37, s41, s37
	s_fmamk_f32 s38, s38, 0x32a5705f, s42
	s_cvt_i32_f32 s41, s45
	s_delay_alu instid0(SALU_CYCLE_1) | instskip(NEXT) | instid1(SALU_CYCLE_1)
	v_s_exp_f32 s37, s37
	s_add_f32 s38, s40, s38
	s_cvt_i32_f32 s40, s44
	s_delay_alu instid0(SALU_CYCLE_2) | instskip(NEXT) | instid1(TRANS32_DEP_2)
	v_s_exp_f32 s38, s38
	v_ldexp_f32 v8, s37, s41
	s_wait_xcnt 0x0
	s_delay_alu instid0(TRANS32_DEP_1) | instskip(NEXT) | instid1(VALU_DEP_2)
	v_ldexp_f32 v4, s38, s40
	v_cndmask_b32_e64 v8, 0, v8, s1
	s_delay_alu instid0(VALU_DEP_1) | instskip(NEXT) | instid1(VALU_DEP_1)
	v_cndmask_b32_e64 v9, 0x7f800000, v8, s2
	v_dual_cndmask_b32 v4, 0, v4, s3 :: v_dual_cndmask_b32 v10, 0, v9, s0
	s_delay_alu instid0(VALU_DEP_1) | instskip(NEXT) | instid1(VALU_DEP_1)
	v_cndmask_b32_e64 v4, 0x7f800000, v4, s4
	v_dual_cndmask_b32 v8, 0, v4, s5 :: v_dual_mov_b32 v4, s39
	s_wait_loadcnt 0x0
	s_delay_alu instid0(VALU_DEP_1) | instskip(NEXT) | instid1(VALU_DEP_1)
	v_pk_mul_f32 v[4:5], v[4:5], v[8:9] op_sel_hi:[1,0]
	v_pk_fma_f32 v[4:5], v[0:1], v[10:11], v[4:5] op_sel_hi:[1,0,1]
	s_cbranch_execz .LBB18_19
.LBB18_17:                              ;   in Loop: Header=BB18_9 Depth=1
	s_and_not1_b32 vcc_lo, exec_lo, s29
	s_cbranch_vccnz .LBB18_20
	s_branch .LBB18_23
.LBB18_18:                              ;   in Loop: Header=BB18_9 Depth=1
	s_and_not1_b32 vcc_lo, exec_lo, s0
	s_cbranch_vccnz .LBB18_17
.LBB18_19:                              ;   in Loop: Header=BB18_9 Depth=1
	s_wait_loadcnt 0x0
	v_mov_b64_e32 v[4:5], v[0:1]
	s_add_co_i32 s24, s36, -1
	s_mov_b32 s33, s20
	s_mov_b32 s17, s28
	s_cbranch_execz .LBB18_23
.LBB18_20:                              ;   in Loop: Header=BB18_9 Depth=1
	s_wait_loadcnt 0x0
	s_delay_alu instid0(VALU_DEP_1)
	v_mov_b64_e32 v[0:1], v[4:5]
	s_mov_b32 s20, s33
	s_mov_b32 s36, s24
	;; [unrolled: 1-line block ×3, first 2 shown]
	s_branch .LBB18_9
.LBB18_21:
                                        ; implicit-def: $sgpr20_sgpr21
	s_branch .LBB18_2
.LBB18_22:
                                        ; implicit-def: $sgpr24_sgpr25
	s_load_b96 s[12:14], s[0:1], 0x44
	s_branch .LBB18_5
.LBB18_23:
	s_delay_alu instid0(VALU_DEP_1) | instskip(SKIP_1) | instid1(VALU_DEP_1)
	v_div_scale_f32 v0, null, v4, v4, v5
	s_wait_loadcnt 0x0
	v_rcp_f32_e32 v1, v0
	v_nop
	s_delay_alu instid0(TRANS32_DEP_1) | instskip(NEXT) | instid1(VALU_DEP_1)
	v_fma_f32 v6, -v0, v1, 1.0
	v_fmac_f32_e32 v1, v6, v1
	v_div_scale_f32 v6, vcc_lo, v5, v4, v5
	s_delay_alu instid0(VALU_DEP_1) | instskip(NEXT) | instid1(VALU_DEP_1)
	v_mul_f32_e32 v7, v6, v1
	v_fma_f32 v8, -v0, v7, v6
	s_delay_alu instid0(VALU_DEP_1) | instskip(NEXT) | instid1(VALU_DEP_1)
	v_fmac_f32_e32 v7, v8, v1
	v_fma_f32 v0, -v0, v7, v6
	s_delay_alu instid0(VALU_DEP_1) | instskip(NEXT) | instid1(VALU_DEP_1)
	v_div_fmas_f32 v0, v0, v1, v7
	v_div_fixup_f32 v0, v0, v4, v5
	global_store_b32 v[2:3], v0, off
.LBB18_24:
	s_endpgm
	.section	.rodata,"a",@progbits
	.p2align	6, 0x0
	.amdhsa_kernel _ZL33flash_attn_stream_k_fixup_generalILi128ELi1ELi8EEvPfPK15HIP_vector_typeIfLj2EEiiiiS1_IjLj3EES5_S5_S5_
		.amdhsa_group_segment_fixed_size 0
		.amdhsa_private_segment_fixed_size 0
		.amdhsa_kernarg_size 336
		.amdhsa_user_sgpr_count 2
		.amdhsa_user_sgpr_dispatch_ptr 0
		.amdhsa_user_sgpr_queue_ptr 0
		.amdhsa_user_sgpr_kernarg_segment_ptr 1
		.amdhsa_user_sgpr_dispatch_id 0
		.amdhsa_user_sgpr_kernarg_preload_length 0
		.amdhsa_user_sgpr_kernarg_preload_offset 0
		.amdhsa_user_sgpr_private_segment_size 0
		.amdhsa_wavefront_size32 1
		.amdhsa_uses_dynamic_stack 0
		.amdhsa_enable_private_segment 0
		.amdhsa_system_sgpr_workgroup_id_x 1
		.amdhsa_system_sgpr_workgroup_id_y 1
		.amdhsa_system_sgpr_workgroup_id_z 1
		.amdhsa_system_sgpr_workgroup_info 0
		.amdhsa_system_vgpr_workitem_id 0
		.amdhsa_next_free_vgpr 12
		.amdhsa_next_free_sgpr 46
		.amdhsa_named_barrier_count 0
		.amdhsa_reserve_vcc 1
		.amdhsa_float_round_mode_32 0
		.amdhsa_float_round_mode_16_64 0
		.amdhsa_float_denorm_mode_32 3
		.amdhsa_float_denorm_mode_16_64 3
		.amdhsa_fp16_overflow 0
		.amdhsa_memory_ordered 1
		.amdhsa_forward_progress 1
		.amdhsa_inst_pref_size 26
		.amdhsa_round_robin_scheduling 0
		.amdhsa_exception_fp_ieee_invalid_op 0
		.amdhsa_exception_fp_denorm_src 0
		.amdhsa_exception_fp_ieee_div_zero 0
		.amdhsa_exception_fp_ieee_overflow 0
		.amdhsa_exception_fp_ieee_underflow 0
		.amdhsa_exception_fp_ieee_inexact 0
		.amdhsa_exception_int_div_zero 0
	.end_amdhsa_kernel
	.section	.text._ZL33flash_attn_stream_k_fixup_generalILi128ELi1ELi8EEvPfPK15HIP_vector_typeIfLj2EEiiiiS1_IjLj3EES5_S5_S5_,"axG",@progbits,_ZL33flash_attn_stream_k_fixup_generalILi128ELi1ELi8EEvPfPK15HIP_vector_typeIfLj2EEiiiiS1_IjLj3EES5_S5_S5_,comdat
.Lfunc_end18:
	.size	_ZL33flash_attn_stream_k_fixup_generalILi128ELi1ELi8EEvPfPK15HIP_vector_typeIfLj2EEiiiiS1_IjLj3EES5_S5_S5_, .Lfunc_end18-_ZL33flash_attn_stream_k_fixup_generalILi128ELi1ELi8EEvPfPK15HIP_vector_typeIfLj2EEiiiiS1_IjLj3EES5_S5_S5_
                                        ; -- End function
	.set _ZL33flash_attn_stream_k_fixup_generalILi128ELi1ELi8EEvPfPK15HIP_vector_typeIfLj2EEiiiiS1_IjLj3EES5_S5_S5_.num_vgpr, 12
	.set _ZL33flash_attn_stream_k_fixup_generalILi128ELi1ELi8EEvPfPK15HIP_vector_typeIfLj2EEiiiiS1_IjLj3EES5_S5_S5_.num_agpr, 0
	.set _ZL33flash_attn_stream_k_fixup_generalILi128ELi1ELi8EEvPfPK15HIP_vector_typeIfLj2EEiiiiS1_IjLj3EES5_S5_S5_.numbered_sgpr, 46
	.set _ZL33flash_attn_stream_k_fixup_generalILi128ELi1ELi8EEvPfPK15HIP_vector_typeIfLj2EEiiiiS1_IjLj3EES5_S5_S5_.num_named_barrier, 0
	.set _ZL33flash_attn_stream_k_fixup_generalILi128ELi1ELi8EEvPfPK15HIP_vector_typeIfLj2EEiiiiS1_IjLj3EES5_S5_S5_.private_seg_size, 0
	.set _ZL33flash_attn_stream_k_fixup_generalILi128ELi1ELi8EEvPfPK15HIP_vector_typeIfLj2EEiiiiS1_IjLj3EES5_S5_S5_.uses_vcc, 1
	.set _ZL33flash_attn_stream_k_fixup_generalILi128ELi1ELi8EEvPfPK15HIP_vector_typeIfLj2EEiiiiS1_IjLj3EES5_S5_S5_.uses_flat_scratch, 0
	.set _ZL33flash_attn_stream_k_fixup_generalILi128ELi1ELi8EEvPfPK15HIP_vector_typeIfLj2EEiiiiS1_IjLj3EES5_S5_S5_.has_dyn_sized_stack, 0
	.set _ZL33flash_attn_stream_k_fixup_generalILi128ELi1ELi8EEvPfPK15HIP_vector_typeIfLj2EEiiiiS1_IjLj3EES5_S5_S5_.has_recursion, 0
	.set _ZL33flash_attn_stream_k_fixup_generalILi128ELi1ELi8EEvPfPK15HIP_vector_typeIfLj2EEiiiiS1_IjLj3EES5_S5_S5_.has_indirect_call, 0
	.section	.AMDGPU.csdata,"",@progbits
; Kernel info:
; codeLenInByte = 3328
; TotalNumSgprs: 48
; NumVgprs: 12
; ScratchSize: 0
; MemoryBound: 0
; FloatMode: 240
; IeeeMode: 1
; LDSByteSize: 0 bytes/workgroup (compile time only)
; SGPRBlocks: 0
; VGPRBlocks: 0
; NumSGPRsForWavesPerEU: 48
; NumVGPRsForWavesPerEU: 12
; NamedBarCnt: 0
; Occupancy: 16
; WaveLimiterHint : 0
; COMPUTE_PGM_RSRC2:SCRATCH_EN: 0
; COMPUTE_PGM_RSRC2:USER_SGPR: 2
; COMPUTE_PGM_RSRC2:TRAP_HANDLER: 0
; COMPUTE_PGM_RSRC2:TGID_X_EN: 1
; COMPUTE_PGM_RSRC2:TGID_Y_EN: 1
; COMPUTE_PGM_RSRC2:TGID_Z_EN: 1
; COMPUTE_PGM_RSRC2:TIDIG_COMP_CNT: 0
	.section	.text._ZL15flash_attn_tileILi192ELi128ELi2ELi16ELb1EEvPKcS1_S1_S1_S1_PKiPfP15HIP_vector_typeIfLj2EEffffjfiS5_IjLj3EEiiiiiiiiiiiliiliiiiil,"axG",@progbits,_ZL15flash_attn_tileILi192ELi128ELi2ELi16ELb1EEvPKcS1_S1_S1_S1_PKiPfP15HIP_vector_typeIfLj2EEffffjfiS5_IjLj3EEiiiiiiiiiiiliiliiiiil,comdat
	.globl	_ZL15flash_attn_tileILi192ELi128ELi2ELi16ELb1EEvPKcS1_S1_S1_S1_PKiPfP15HIP_vector_typeIfLj2EEffffjfiS5_IjLj3EEiiiiiiiiiiiliiliiiiil ; -- Begin function _ZL15flash_attn_tileILi192ELi128ELi2ELi16ELb1EEvPKcS1_S1_S1_S1_PKiPfP15HIP_vector_typeIfLj2EEffffjfiS5_IjLj3EEiiiiiiiiiiiliiliiiiil
	.p2align	8
	.type	_ZL15flash_attn_tileILi192ELi128ELi2ELi16ELb1EEvPKcS1_S1_S1_S1_PKiPfP15HIP_vector_typeIfLj2EEffffjfiS5_IjLj3EEiiiiiiiiiiiliiliiiiil,@function
_ZL15flash_attn_tileILi192ELi128ELi2ELi16ELb1EEvPKcS1_S1_S1_S1_PKiPfP15HIP_vector_typeIfLj2EEffffjfiS5_IjLj3EEiiiiiiiiiiiliiliiiiil: ; @_ZL15flash_attn_tileILi192ELi128ELi2ELi16ELb1EEvPKcS1_S1_S1_S1_PKiPfP15HIP_vector_typeIfLj2EEffffjfiS5_IjLj3EEiiiiiiiiiiiliiliiiiil
; %bb.0:
	s_clause 0x1
	s_load_b128 s[20:23], s[0:1], 0x5c
	s_load_b64 s[28:29], s[0:1], 0x80
	s_bfe_u32 s5, ttmp6, 0x40014
	s_lshr_b32 s4, ttmp7, 16
	s_add_co_i32 s5, s5, 1
	s_bfe_u32 s6, ttmp6, 0x40008
	s_mul_i32 s5, s4, s5
	s_getreg_b32 s24, hwreg(HW_REG_IB_STS2, 6, 4)
	s_add_co_i32 s6, s6, s5
	s_load_b64 s[36:37], s[0:1], 0xb8
	s_mov_b32 s35, 0
	s_mov_b64 s[30:31], 0
	s_wait_kmcnt 0x0
	s_ashr_i32 s2, s23, 31
	s_delay_alu instid0(SALU_CYCLE_1) | instskip(NEXT) | instid1(SALU_CYCLE_1)
	s_lshr_b32 s2, s2, 28
	s_add_co_i32 s2, s23, s2
	s_delay_alu instid0(SALU_CYCLE_1) | instskip(NEXT) | instid1(SALU_CYCLE_1)
	s_ashr_i32 s2, s2, 4
	s_cvt_f32_u32 s3, s2
	s_sub_co_i32 s7, 0, s2
	s_delay_alu instid0(SALU_CYCLE_2) | instskip(SKIP_1) | instid1(TRANS32_DEP_1)
	v_rcp_iflag_f32_e32 v1, s3
	v_nop
	v_readfirstlane_b32 s3, v1
	s_mul_f32 s3, s3, 0x4f7ffffe
	s_delay_alu instid0(SALU_CYCLE_3) | instskip(NEXT) | instid1(SALU_CYCLE_3)
	s_cvt_u32_f32 s3, s3
	s_mul_i32 s7, s7, s3
	s_delay_alu instid0(SALU_CYCLE_1) | instskip(NEXT) | instid1(SALU_CYCLE_1)
	s_mul_hi_u32 s7, s3, s7
	s_add_co_i32 s3, s3, s7
	s_cmp_eq_u32 s24, 0
	s_cselect_b32 s4, s4, s6
	s_delay_alu instid0(SALU_CYCLE_1) | instskip(NEXT) | instid1(SALU_CYCLE_1)
	s_mul_hi_u32 s3, s4, s3
	s_mul_i32 s5, s3, s2
	s_add_co_i32 s6, s3, 1
	s_sub_co_i32 s5, s4, s5
	s_delay_alu instid0(SALU_CYCLE_1)
	s_sub_co_i32 s7, s5, s2
	s_cmp_ge_u32 s5, s2
	s_cselect_b32 s3, s6, s3
	s_cselect_b32 s5, s7, s5
	s_add_co_i32 s6, s3, 1
	s_cmp_ge_u32 s5, s2
	s_cselect_b32 s2, s6, s3
	s_abs_i32 s3, s29
	s_lshl_b32 s4, s4, 4
	s_cvt_f32_u32 s5, s3
	s_sub_co_i32 s6, 0, s3
	s_mul_i32 s7, s2, s23
	s_abs_i32 s8, s23
	v_rcp_iflag_f32_e32 v1, s5
	s_sub_co_i32 s33, s4, s7
	v_nop
	s_delay_alu instid0(TRANS32_DEP_1) | instskip(SKIP_1) | instid1(SALU_CYCLE_3)
	v_readfirstlane_b32 s5, v1
	s_mul_f32 s5, s5, 0x4f7ffffe
	s_cvt_u32_f32 s5, s5
	s_delay_alu instid0(SALU_CYCLE_3) | instskip(NEXT) | instid1(SALU_CYCLE_1)
	s_mul_i32 s6, s6, s5
	s_mul_hi_u32 s6, s5, s6
	s_delay_alu instid0(SALU_CYCLE_1) | instskip(NEXT) | instid1(SALU_CYCLE_1)
	s_add_co_i32 s5, s5, s6
	s_mul_hi_u32 s4, s8, s5
	s_xor_b32 s5, s23, s29
	s_mul_i32 s6, s4, s3
	s_ashr_i32 s25, s5, 31
	s_sub_co_i32 s5, s8, s6
	s_add_co_i32 s6, s4, 1
	s_sub_co_i32 s7, s5, s3
	s_cmp_ge_u32 s5, s3
	s_cselect_b32 s4, s6, s4
	s_cselect_b32 s5, s7, s5
	s_add_co_i32 s6, s4, 1
	s_cmp_ge_u32 s5, s3
	s_cselect_b32 s3, s6, s4
	s_load_b512 s[4:19], s[0:1], 0x0
	s_xor_b32 s3, s3, s25
	s_delay_alu instid0(SALU_CYCLE_1) | instskip(NEXT) | instid1(SALU_CYCLE_1)
	s_sub_co_i32 s3, s3, s25
	s_abs_i32 s38, s3
	s_delay_alu instid0(SALU_CYCLE_1) | instskip(NEXT) | instid1(SALU_CYCLE_3)
	s_cvt_f32_u32 s25, s38
	v_rcp_iflag_f32_e32 v1, s25
	v_nop
	s_delay_alu instid0(TRANS32_DEP_1)
	v_readfirstlane_b32 s25, v1
	s_wait_kmcnt 0x0
	s_cmp_eq_u64 s[10:11], 0
	s_cbranch_scc1 .LBB19_2
; %bb.1:
	s_abs_i32 s29, s36
	s_abs_i32 s30, s2
	s_cvt_f32_u32 s26, s29
	s_sub_co_i32 s27, 0, s29
	s_delay_alu instid0(SALU_CYCLE_2) | instskip(SKIP_1) | instid1(TRANS32_DEP_1)
	v_rcp_iflag_f32_e32 v1, s26
	v_nop
	v_readfirstlane_b32 s26, v1
	s_mul_f32 s26, s26, 0x4f7ffffe
	s_delay_alu instid0(SALU_CYCLE_3) | instskip(NEXT) | instid1(SALU_CYCLE_3)
	s_cvt_u32_f32 s26, s26
	s_mul_i32 s27, s27, s26
	s_delay_alu instid0(SALU_CYCLE_1) | instskip(NEXT) | instid1(SALU_CYCLE_1)
	s_mul_hi_u32 s27, s26, s27
	s_add_co_i32 s26, s26, s27
	s_delay_alu instid0(SALU_CYCLE_1) | instskip(SKIP_2) | instid1(SALU_CYCLE_1)
	s_mul_hi_u32 s31, s30, s26
	s_load_b64 s[26:27], s[0:1], 0xc8
	s_mul_i32 s31, s31, s29
	s_sub_co_i32 s30, s30, s31
	s_ashr_i32 s31, s2, 31
	s_sub_co_i32 s34, s30, s29
	s_cmp_ge_u32 s30, s29
	s_cselect_b32 s30, s34, s30
	s_delay_alu instid0(SALU_CYCLE_1) | instskip(SKIP_2) | instid1(SALU_CYCLE_1)
	s_sub_co_i32 s34, s30, s29
	s_cmp_ge_u32 s30, s29
	s_cselect_b32 s29, s34, s30
	s_xor_b32 s29, s29, s31
	s_delay_alu instid0(SALU_CYCLE_1) | instskip(NEXT) | instid1(SALU_CYCLE_1)
	s_sub_co_i32 s30, s29, s31
	s_ashr_i32 s31, s30, 31
	s_wait_kmcnt 0x0
	s_mul_u64 s[26:27], s[26:27], s[30:31]
	s_delay_alu instid0(SALU_CYCLE_1)
	s_add_nc_u64 s[30:31], s[10:11], s[26:27]
.LBB19_2:
	s_bfe_u32 s10, ttmp6, 0x4000c
	v_dual_lshrrev_b32 v1, 10, v0 :: v_dual_mov_b32 v3, 0
	s_add_co_i32 s10, s10, 1
	s_and_b32 s11, ttmp6, 15
	s_mul_i32 s10, ttmp9, s10
	s_delay_alu instid0(VALU_DEP_1)
	v_bfe_u32 v1, v1, 2, 8
	s_add_co_i32 s11, s11, s10
	s_cmp_eq_u32 s24, 0
	v_bfe_u32 v8, v0, 10, 10
	s_cselect_b32 s26, ttmp9, s11
	s_load_b96 s[40:42], s[0:1], 0x70
	v_lshl_add_u32 v42, s26, 1, v1
	s_delay_alu instid0(VALU_DEP_2) | instskip(SKIP_1) | instid1(VALU_DEP_3)
	v_dual_mov_b32 v25, v3 :: v_dual_lshlrev_b32 v9, 2, v8
	v_mul_u32_u24_e32 v45, 0x600, v8
	v_mul_hi_u32 v1, s20, v42
	s_delay_alu instid0(VALU_DEP_3) | instskip(NEXT) | instid1(VALU_DEP_2)
	v_and_b32_e32 v24, 12, v9
	v_add_nc_u32_e32 v1, v42, v1
	s_wait_kmcnt 0x0
	s_mul_i32 s20, s33, s41
	s_ashr_i32 s11, s41, 31
	s_delay_alu instid0(VALU_DEP_1)
	v_lshrrev_b32_e32 v1, s21, v1
	s_mov_b32 s10, s41
	s_ashr_i32 s41, s40, 31
	s_lshr_b64 s[10:11], s[10:11], 2
	s_lshr_b64 s[40:41], s[40:41], 2
	v_mul_lo_u32 v1, v1, s22
	v_mul_u64_e32 v[6:7], s[10:11], v[24:25]
	v_and_b32_e32 v25, 0x3ff, v0
	s_ashr_i32 s21, s20, 31
	s_delay_alu instid0(VALU_DEP_1) | instskip(SKIP_2) | instid1(VALU_DEP_1)
	v_dual_lshlrev_b32 v0, 4, v25 :: v_dual_lshlrev_b32 v44, 3, v25
	v_cmp_gt_u32_e32 vcc_lo, 16, v25
	v_dual_mov_b32 v1, v3 :: v_dual_sub_nc_u32 v2, v42, v1
	v_mul_u64_e32 v[4:5], s[40:41], v[2:3]
	s_mul_i32 s40, s2, s42
	s_delay_alu instid0(SALU_CYCLE_1) | instskip(NEXT) | instid1(SALU_CYCLE_1)
	s_ashr_i32 s41, s40, 31
	s_add_nc_u64 s[4:5], s[4:5], s[40:41]
	s_delay_alu instid0(SALU_CYCLE_1)
	s_add_nc_u64 s[4:5], s[4:5], s[20:21]
	s_delay_alu instid0(VALU_DEP_1) | instid1(SALU_CYCLE_1)
	v_lshl_add_u64 v[4:5], v[4:5], 2, s[4:5]
	s_load_b32 s4, s[0:1], 0x40
	s_delay_alu instid0(VALU_DEP_1) | instskip(NEXT) | instid1(VALU_DEP_1)
	v_add_nc_u64_e32 v[0:1], v[4:5], v[0:1]
	v_lshl_add_u64 v[4:5], v[6:7], 2, v[0:1]
	global_load_b128 v[10:13], v[4:5], off
	s_wait_kmcnt 0x0
	s_mov_b32 s5, s4
	s_wait_loadcnt 0x0
	v_fma_mixlo_f16 v14, s4, v10, 0
	v_mov_b32_e32 v10, v13
	s_delay_alu instid0(VALU_DEP_1) | instskip(NEXT) | instid1(VALU_DEP_3)
	v_pk_mul_f32 v[6:7], s[4:5], v[10:11] op_sel_hi:[0,1]
	v_and_b32_e32 v10, 0xffff, v14
	s_delay_alu instid0(VALU_DEP_2) | instskip(SKIP_1) | instid1(VALU_DEP_2)
	v_cvt_pk_f16_f32 v6, v6, v7
	v_fma_mixlo_f16 v7, s4, v12, 0
	v_and_b32_e32 v11, 0xffff0000, v6
	s_delay_alu instid0(VALU_DEP_2) | instskip(SKIP_1) | instid1(VALU_DEP_3)
	v_and_b32_e32 v7, 0xffff, v7
	v_lshlrev_b32_e32 v6, 16, v6
	v_or_b32_e32 v10, v11, v10
	v_mad_u32_u24 v11, 0x600, v8, v44
	s_delay_alu instid0(VALU_DEP_3) | instskip(NEXT) | instid1(VALU_DEP_3)
	v_or3_b32 v7, v6, v7, 0
	v_or3_b32 v6, 0, 0, v10
	ds_store_b64 v11, v[6:7]
	s_and_saveexec_b32 s20, vcc_lo
	s_cbranch_execz .LBB19_4
; %bb.3:
	global_load_b128 v[4:7], v[4:5], off offset:512
	v_mov_b64_e32 v[10:11], s[4:5]
	s_wait_loadcnt 0x0
	v_fma_mixlo_f16 v12, s4, v4, 0
	v_mov_b32_e32 v4, v7
	s_delay_alu instid0(VALU_DEP_1) | instskip(NEXT) | instid1(VALU_DEP_1)
	v_pk_mul_f32 v[4:5], v[10:11], v[4:5]
	v_cvt_pk_f16_f32 v4, v4, v5
	v_fma_mixlo_f16 v5, s4, v6, 0
	v_and_b32_e32 v6, 0xffff, v12
	s_delay_alu instid0(VALU_DEP_3) | instskip(NEXT) | instid1(VALU_DEP_3)
	v_and_b32_e32 v7, 0xffff0000, v4
	v_and_b32_e32 v5, 0xffff, v5
	s_delay_alu instid0(VALU_DEP_2) | instskip(NEXT) | instid1(VALU_DEP_1)
	v_dual_lshlrev_b32 v4, 16, v4 :: v_dual_bitop2_b32 v6, v7, v6 bitop3:0x54
	v_or3_b32 v5, v4, v5, 0
	s_delay_alu instid0(VALU_DEP_2)
	v_or3_b32 v4, 0, 0, v6
	v_add_nc_u32_e32 v6, v44, v45
	ds_store_b64 v6, v[4:5] offset:256
.LBB19_4:
	s_or_b32 exec_lo, exec_lo, s20
	v_bitop3_b32 v4, v9, 13, 1 bitop3:0xc8
	v_mov_b32_e32 v5, v3
	v_mov_b64_e32 v[6:7], s[4:5]
	s_delay_alu instid0(VALU_DEP_2) | instskip(NEXT) | instid1(VALU_DEP_1)
	v_mul_u64_e32 v[4:5], s[10:11], v[4:5]
	v_lshl_add_u64 v[4:5], v[4:5], 2, v[0:1]
	global_load_b128 v[10:13], v[4:5], off
	s_wait_loadcnt 0x0
	v_fma_mixlo_f16 v3, s4, v10, 0
	v_mov_b32_e32 v10, v13
	s_delay_alu instid0(VALU_DEP_2) | instskip(NEXT) | instid1(VALU_DEP_2)
	v_and_b32_e32 v3, 0xffff, v3
	v_pk_mul_f32 v[6:7], v[6:7], v[10:11]
	s_delay_alu instid0(VALU_DEP_1) | instskip(SKIP_2) | instid1(VALU_DEP_3)
	v_cvt_pk_f16_f32 v6, v6, v7
	v_fma_mixlo_f16 v7, s4, v12, 0
	v_or_b32_e32 v11, 1, v9
	v_and_b32_e32 v10, 0xffff0000, v6
	s_delay_alu instid0(VALU_DEP_3) | instskip(NEXT) | instid1(VALU_DEP_2)
	v_and_b32_e32 v7, 0xffff, v7
	v_dual_lshlrev_b32 v6, 16, v6 :: v_dual_bitop2_b32 v3, v10, v3 bitop3:0x54
	s_delay_alu instid0(VALU_DEP_4) | instskip(SKIP_1) | instid1(VALU_DEP_3)
	v_mul_u32_u24_e32 v10, 0x180, v11
	v_mad_u32_u24 v11, 0x180, v11, v44
	v_or3_b32 v7, v6, v7, 0
	s_delay_alu instid0(VALU_DEP_4) | instskip(NEXT) | instid1(VALU_DEP_4)
	v_or3_b32 v6, 0, 0, v3
	v_add_nc_u32_e32 v3, v44, v10
	ds_store_b64 v11, v[6:7]
	s_and_saveexec_b32 s20, vcc_lo
	s_cbranch_execz .LBB19_6
; %bb.5:
	global_load_b128 v[4:7], v[4:5], off offset:512
	v_mov_b64_e32 v[10:11], s[4:5]
	s_wait_loadcnt 0x0
	v_fma_mixlo_f16 v12, s4, v4, 0
	v_mov_b32_e32 v4, v7
	s_delay_alu instid0(VALU_DEP_1) | instskip(NEXT) | instid1(VALU_DEP_1)
	v_pk_mul_f32 v[4:5], v[10:11], v[4:5]
	v_cvt_pk_f16_f32 v4, v4, v5
	v_fma_mixlo_f16 v5, s4, v6, 0
	v_and_b32_e32 v6, 0xffff, v12
	s_delay_alu instid0(VALU_DEP_3) | instskip(NEXT) | instid1(VALU_DEP_3)
	v_and_b32_e32 v7, 0xffff0000, v4
	v_and_b32_e32 v5, 0xffff, v5
	s_delay_alu instid0(VALU_DEP_2) | instskip(NEXT) | instid1(VALU_DEP_1)
	v_dual_lshlrev_b32 v4, 16, v4 :: v_dual_bitop2_b32 v6, v7, v6 bitop3:0x54
	v_or3_b32 v5, v4, v5, 0
	s_delay_alu instid0(VALU_DEP_2)
	v_or3_b32 v4, 0, 0, v6
	ds_store_b64 v3, v[4:5] offset:256
.LBB19_6:
	s_or_b32 exec_lo, exec_lo, s20
	v_bitop3_b32 v4, v9, 14, 2 bitop3:0xc8
	v_mov_b32_e32 v5, 0
	v_mov_b64_e32 v[14:15], s[4:5]
	s_delay_alu instid0(VALU_DEP_2) | instskip(NEXT) | instid1(VALU_DEP_1)
	v_mul_u64_e32 v[6:7], s[10:11], v[4:5]
	v_lshl_add_u64 v[6:7], v[6:7], 2, v[0:1]
	global_load_b128 v[10:13], v[6:7], off
	s_wait_loadcnt 0x0
	v_fma_mixlo_f16 v4, s4, v10, 0
	v_mov_b32_e32 v10, v13
	s_delay_alu instid0(VALU_DEP_2) | instskip(NEXT) | instid1(VALU_DEP_2)
	v_and_b32_e32 v4, 0xffff, v4
	v_pk_mul_f32 v[10:11], v[14:15], v[10:11]
	s_delay_alu instid0(VALU_DEP_1) | instskip(SKIP_1) | instid1(VALU_DEP_2)
	v_cvt_pk_f16_f32 v10, v10, v11
	v_fma_mixlo_f16 v11, s4, v12, 0
	v_and_b32_e32 v12, 0xffff0000, v10
	s_delay_alu instid0(VALU_DEP_2) | instskip(NEXT) | instid1(VALU_DEP_2)
	v_and_b32_e32 v11, 0xffff, v11
	v_dual_lshlrev_b32 v10, 16, v10 :: v_dual_bitop2_b32 v4, v12, v4 bitop3:0x54
	s_delay_alu instid0(VALU_DEP_1) | instskip(NEXT) | instid1(VALU_DEP_2)
	v_or3_b32 v11, v10, v11, 0
	v_or3_b32 v10, 0, 0, v4
	ds_store_b64 v3, v[10:11] offset:384
	s_and_saveexec_b32 s20, vcc_lo
	s_cbranch_execz .LBB19_8
; %bb.7:
	global_load_b128 v[10:13], v[6:7], off offset:512
	s_wait_xcnt 0x0
	v_mov_b64_e32 v[6:7], s[4:5]
	s_wait_loadcnt 0x0
	v_fma_mixlo_f16 v4, s4, v10, 0
	v_mov_b32_e32 v10, v13
	s_delay_alu instid0(VALU_DEP_2) | instskip(NEXT) | instid1(VALU_DEP_2)
	v_and_b32_e32 v4, 0xffff, v4
	v_pk_mul_f32 v[6:7], v[6:7], v[10:11]
	s_delay_alu instid0(VALU_DEP_1) | instskip(SKIP_1) | instid1(VALU_DEP_2)
	v_cvt_pk_f16_f32 v6, v6, v7
	v_fma_mixlo_f16 v7, s4, v12, 0
	v_and_b32_e32 v10, 0xffff0000, v6
	s_delay_alu instid0(VALU_DEP_2) | instskip(NEXT) | instid1(VALU_DEP_2)
	v_and_b32_e32 v7, 0xffff, v7
	v_dual_lshlrev_b32 v6, 16, v6 :: v_dual_bitop2_b32 v4, v10, v4 bitop3:0x54
	s_delay_alu instid0(VALU_DEP_1) | instskip(NEXT) | instid1(VALU_DEP_2)
	v_or3_b32 v7, v6, v7, 0
	v_or3_b32 v6, 0, 0, v4
	ds_store_b64 v3, v[6:7] offset:640
.LBB19_8:
	s_or_b32 exec_lo, exec_lo, s20
	v_bitop3_b32 v4, v9, 15, 3 bitop3:0xc8
	v_mov_b64_e32 v[10:11], s[4:5]
	s_delay_alu instid0(VALU_DEP_2) | instskip(NEXT) | instid1(VALU_DEP_1)
	v_mul_u64_e32 v[4:5], s[10:11], v[4:5]
	v_lshl_add_u64 v[0:1], v[4:5], 2, v[0:1]
	global_load_b128 v[4:7], v[0:1], off
	s_wait_loadcnt 0x0
	v_fma_mixlo_f16 v12, s4, v4, 0
	v_mov_b32_e32 v4, v7
	s_delay_alu instid0(VALU_DEP_1) | instskip(NEXT) | instid1(VALU_DEP_1)
	v_pk_mul_f32 v[4:5], v[10:11], v[4:5]
	v_cvt_pk_f16_f32 v4, v4, v5
	v_fma_mixlo_f16 v5, s4, v6, 0
	v_and_b32_e32 v6, 0xffff, v12
	s_delay_alu instid0(VALU_DEP_3) | instskip(NEXT) | instid1(VALU_DEP_3)
	v_and_b32_e32 v7, 0xffff0000, v4
	v_and_b32_e32 v5, 0xffff, v5
	s_delay_alu instid0(VALU_DEP_2) | instskip(NEXT) | instid1(VALU_DEP_1)
	v_dual_lshlrev_b32 v4, 16, v4 :: v_dual_bitop2_b32 v6, v7, v6 bitop3:0x54
	v_or3_b32 v5, v4, v5, 0
	s_delay_alu instid0(VALU_DEP_2)
	v_or3_b32 v4, 0, 0, v6
	ds_store_b64 v3, v[4:5] offset:768
	s_and_saveexec_b32 s10, vcc_lo
	s_cbranch_execz .LBB19_10
; %bb.9:
	global_load_b128 v[4:7], v[0:1], off offset:512
	s_wait_xcnt 0x0
	v_mov_b64_e32 v[0:1], s[4:5]
	s_wait_loadcnt 0x0
	v_fma_mixlo_f16 v10, s4, v4, 0
	v_mov_b32_e32 v4, v7
	s_delay_alu instid0(VALU_DEP_1) | instskip(NEXT) | instid1(VALU_DEP_3)
	v_pk_mul_f32 v[0:1], v[0:1], v[4:5]
	v_and_b32_e32 v4, 0xffff, v10
	s_delay_alu instid0(VALU_DEP_2) | instskip(SKIP_1) | instid1(VALU_DEP_2)
	v_cvt_pk_f16_f32 v0, v0, v1
	v_fma_mixlo_f16 v1, s4, v6, 0
	v_and_b32_e32 v5, 0xffff0000, v0
	s_delay_alu instid0(VALU_DEP_2) | instskip(SKIP_1) | instid1(VALU_DEP_3)
	v_and_b32_e32 v1, 0xffff, v1
	v_lshlrev_b32_e32 v0, 16, v0
	v_or_b32_e32 v4, v5, v4
	s_delay_alu instid0(VALU_DEP_2) | instskip(NEXT) | instid1(VALU_DEP_2)
	v_or3_b32 v1, v0, v1, 0
	v_or3_b32 v0, 0, 0, v4
	ds_store_b64 v3, v[0:1] offset:1024
.LBB19_10:
	s_or_b32 exec_lo, exec_lo, s10
	s_cmp_eq_u64 s[14:15], 0
	s_wait_dscnt 0x0
	s_barrier_signal -1
	s_barrier_wait -1
	s_cbranch_scc1 .LBB19_12
; %bb.11:
	s_load_b32 s4, s[0:1], 0xd0
	s_wait_kmcnt 0x0
	s_mul_i32 s4, s4, s2
	s_delay_alu instid0(SALU_CYCLE_1)
	s_add_co_i32 s4, s4, s26
	s_load_b32 s28, s[14:15], s4 offset:0x0 scale_offset
.LBB19_12:
	s_wait_xcnt 0x0
	s_bfe_u32 s4, ttmp6, 0x40010
	s_and_b32 s5, ttmp7, 0xffff
	s_add_co_i32 s4, s4, 1
	s_bfe_u32 s10, ttmp6, 0x40004
	s_mul_i32 s4, s5, s4
	v_mbcnt_lo_u32_b32 v46, -1, 0
	s_add_co_i32 s10, s10, s4
	s_cmp_eq_u32 s24, 0
	s_cselect_b32 s29, s5, s10
	s_mov_b32 s5, 0
	s_lshl_b32 s4, s29, 6
	s_wait_kmcnt 0x0
	s_cmp_lt_i32 s4, s28
	s_cbranch_scc1 .LBB19_15
; %bb.13:
	v_mbcnt_lo_u32_b32 v4, -1, 0
	s_delay_alu instid0(VALU_DEP_1)
	v_dual_mov_b32 v47, 32 :: v_dual_bitop2_b32 v59, 16, v4 bitop3:0x14
	v_xor_b32_e32 v58, 8, v4
	v_xor_b32_e32 v57, 4, v4
	v_xor_b32_e32 v56, 2, v4
	v_dual_lshlrev_b32 v43, 2, v25 :: v_dual_bitop2_b32 v55, 1, v4 bitop3:0x14
	s_and_not1_b32 vcc_lo, exec_lo, s5
	s_cbranch_vccz .LBB19_16
; %bb.14:
	v_dual_mov_b32 v14, 0 :: v_dual_mov_b32 v27, 0
	v_dual_mov_b32 v3, 0xfeffffff :: v_dual_mov_b32 v2, 0xfeffffff
	;; [unrolled: 1-line block ×3, first 2 shown]
	s_delay_alu instid0(VALU_DEP_3)
	v_dual_mov_b32 v26, v27 :: v_dual_mov_b32 v29, v27
	v_dual_mov_b32 v28, v27 :: v_dual_mov_b32 v19, 0
	;; [unrolled: 1-line block ×5, first 2 shown]
	s_branch .LBB19_52
.LBB19_15:
                                        ; implicit-def: $vgpr4
                                        ; implicit-def: $vgpr47
                                        ; implicit-def: $vgpr59
                                        ; implicit-def: $vgpr58
                                        ; implicit-def: $vgpr57
                                        ; implicit-def: $vgpr56
                                        ; implicit-def: $vgpr55
	v_lshlrev_b32_e32 v43, 2, v25
.LBB19_16:
	s_mul_f32 s5, s25, 0x4f7ffffe
	s_clause 0x1
	s_load_b128 s[24:27], s[0:1], 0x98
	s_load_b64 s[14:15], s[0:1], 0x8c
	s_sub_co_i32 s10, 0, s38
	s_ashr_i32 s39, s3, 31
	s_cvt_u32_f32 s5, s5
	v_dual_lshrrev_b32 v0, 3, v25 :: v_dual_lshrrev_b32 v3, 4, v25
	s_abs_i32 s34, s33
	s_delay_alu instid0(SALU_CYCLE_1)
	s_mul_i32 s10, s10, s5
	s_mov_b32 s11, s35
	s_mul_hi_u32 s3, s5, s10
	v_dual_add_nc_u32 v1, v0, v9 :: v_dual_bitop2_b32 v0, 28, v43 bitop3:0x40
	s_add_co_i32 s10, s5, s3
	v_lshl_add_u32 v3, v8, 1, v3
	s_mul_u64 s[10:11], s[34:35], s[10:11]
	s_ashr_i32 s36, s33, 31
	s_mul_i32 s5, s11, s38
	s_ashr_i32 s37, s37, 1
	s_sub_co_i32 s5, s34, s5
	s_wait_kmcnt 0x0
	s_ashr_i32 s10, s26, 2
	s_ashr_i32 s14, s14, 2
	;; [unrolled: 1-line block ×3, first 2 shown]
	s_xor_b32 s35, s36, s39
	s_add_co_i32 s26, s11, 1
	s_sub_co_i32 s34, s5, s38
	v_mul_lo_u32 v30, s14, v1
	v_mul_lo_u32 v6, s10, v3
	s_load_b64 s[20:21], s[0:1], 0xa8
	s_cmp_ge_u32 s5, s38
	v_dual_lshlrev_b32 v5, 2, v0 :: v_dual_mov_b32 v33, 0
	s_cselect_b32 s11, s26, s11
	s_cselect_b32 s5, s34, s5
	s_add_co_i32 s26, s11, 1
	s_cmp_ge_u32 s5, s38
	s_delay_alu instid0(VALU_DEP_3)
	v_dual_ashrrev_i32 v31, 31, v30 :: v_dual_bitop2_b32 v4, 60, v43 bitop3:0x40
	s_cselect_b32 s5, s26, s11
	s_load_b32 s26, s[0:1], 0x54
	v_mad_u32_u24 v1, 0x90, v1, v5
	v_lshl_add_u32 v34, s14, 5, v30
	v_lshlrev_b32_e32 v5, 2, v4
	v_mad_u32 v51, v2, s37, v25
	v_lshl_add_u32 v2, s10, 4, v6
	v_dual_mov_b32 v37, v33 :: v_dual_add_nc_u32 v48, 0x3000, v1
	v_dual_mov_b32 v16, v33 :: v_dual_add_nc_u32 v49, 0x4200, v1
	v_ashrrev_i32_e32 v35, 31, v34
	v_lshl_or_b32 v1, v3, 8, v5
	v_dual_ashrrev_i32 v7, 31, v6 :: v_dual_lshlrev_b32 v36, 2, v0
	v_dual_ashrrev_i32 v3, 31, v2 :: v_dual_lshlrev_b32 v32, 2, v4
	s_xor_b32 s5, s5, s35
	s_mul_u64 s[24:25], s[24:25], s[2:3]
	s_sub_co_i32 s5, s5, s35
	s_wait_kmcnt 0x0
	s_mul_u64 s[20:21], s[20:21], s[2:3]
	s_movk_i32 s3, 0x3000
	v_lshlrev_b64_e32 v[38:39], 2, v[6:7]
	v_lshlrev_b64_e32 v[40:41], 2, v[2:3]
	s_mul_i32 s34, s5, s15
	s_add_nc_u64 s[6:7], s[6:7], s[24:25]
	s_mul_i32 s24, s5, s27
	v_mad_u32_u24 v50, 0x90, v25, s3
	v_lshl_add_u32 v52, v8, 9, 0x5400
	v_dual_mov_b32 v12, v33 :: v_dual_add_nc_u32 v53, 0x3000, v1
	v_dual_mov_b32 v47, 32 :: v_dual_add_nc_u32 v54, 0x4000, v1
	v_dual_mov_b32 v21, 0xfeffffff :: v_dual_mov_b32 v18, v33
	v_dual_mov_b32 v15, v33 :: v_dual_mov_b32 v17, v33
	;; [unrolled: 1-line block ×7, first 2 shown]
	s_ashr_i32 s35, s34, 31
	s_add_nc_u64 s[8:9], s[8:9], s[20:21]
	s_ashr_i32 s25, s24, 31
	s_add_nc_u64 s[6:7], s[6:7], s[34:35]
	s_add_nc_u64 s[8:9], s[8:9], s[24:25]
	s_ashr_i32 s15, s14, 31
	s_ashr_i32 s11, s10, 31
	s_add_nc_u64 s[20:21], s[0:1], 0xd0
	s_mov_b32 s3, 0xbbbac73d
.LBB19_17:                              ; =>This Inner Loop Header: Depth=1
	s_ashr_i32 s5, s4, 31
	v_mov_b32_e32 v77, 0
	s_mul_u64 s[24:25], s[4:5], s[14:15]
	v_mov_b32_e32 v78, 0
	s_lshl_b64 s[24:25], s[24:25], 2
	s_delay_alu instid0(SALU_CYCLE_1) | instskip(NEXT) | instid1(SALU_CYCLE_1)
	s_add_nc_u64 s[24:25], s[6:7], s[24:25]
	v_lshl_add_u64 v[0:1], v[30:31], 2, s[24:25]
	v_lshl_add_u64 v[2:3], v[34:35], 2, s[24:25]
	s_delay_alu instid0(VALU_DEP_2) | instskip(NEXT) | instid1(VALU_DEP_2)
	v_add_nc_u64_e32 v[0:1], v[0:1], v[36:37]
	v_add_nc_u64_e32 v[2:3], v[2:3], v[36:37]
	s_clause 0x1
	global_load_b128 v[4:7], v[0:1], off
	global_load_b128 v[8:11], v[2:3], off
	s_wait_loadcnt 0x1
	ds_store_b128 v48, v[4:7]
	s_wait_loadcnt 0x0
	ds_store_b128 v49, v[8:11]
	s_wait_dscnt 0x0
	s_barrier_signal -1
	s_barrier_wait -1
	ds_load_b128 v[56:59], v50
	ds_load_b128 v[60:63], v45
	ds_load_b128 v[64:67], v45 offset:384
	ds_load_b128 v[68:71], v45 offset:768
	v_dual_mov_b32 v6, 0 :: v_dual_mov_b32 v10, 0
	ds_load_b128 v[72:75], v45 offset:1152
	ds_load_b128 v[80:83], v50 offset:4608
	v_dual_mov_b32 v8, 0 :: v_dual_mov_b32 v7, 0
	v_dual_mov_b32 v11, 0 :: v_dual_mov_b32 v9, 0
	s_wait_dscnt 0x4
	;;#ASMSTART
	v_dot2_f32_f16 v6, v56, v60, v6
	;;#ASMEND
	;;#ASMSTART
	v_dot2_f32_f16 v6, v57, v61, v6
	;;#ASMEND
	;;#ASMSTART
	v_dot2_f32_f16 v6, v58, v62, v6
	;;#ASMEND
	;;#ASMSTART
	v_dot2_f32_f16 v6, v59, v63, v6
	;;#ASMEND
	s_wait_dscnt 0x3
	;;#ASMSTART
	v_dot2_f32_f16 v10, v56, v64, v10
	;;#ASMEND
	;;#ASMSTART
	v_dot2_f32_f16 v10, v57, v65, v10
	;;#ASMEND
	;;#ASMSTART
	v_dot2_f32_f16 v10, v58, v66, v10
	;;#ASMEND
	;;#ASMSTART
	v_dot2_f32_f16 v10, v59, v67, v10
	;;#ASMEND
	;; [unrolled: 13-line block ×5, first 2 shown]
	;;#ASMSTART
	v_dot2_f32_f16 v11, v80, v64, v11
	;;#ASMEND
	;;#ASMSTART
	v_dot2_f32_f16 v11, v81, v65, v11
	;;#ASMEND
	;; [unrolled: 3-line block ×12, first 2 shown]
	ds_load_b128 v[56:59], v50 offset:16
	ds_load_b128 v[60:63], v45 offset:16
	;; [unrolled: 1-line block ×6, first 2 shown]
	s_wait_dscnt 0x4
	;;#ASMSTART
	v_dot2_f32_f16 v6, v56, v60, v6
	;;#ASMEND
	;;#ASMSTART
	v_dot2_f32_f16 v6, v57, v61, v6
	;;#ASMEND
	;;#ASMSTART
	v_dot2_f32_f16 v6, v58, v62, v6
	;;#ASMEND
	;;#ASMSTART
	v_dot2_f32_f16 v6, v59, v63, v6
	;;#ASMEND
	s_wait_dscnt 0x3
	;;#ASMSTART
	v_dot2_f32_f16 v10, v56, v64, v10
	;;#ASMEND
	;;#ASMSTART
	v_dot2_f32_f16 v10, v57, v65, v10
	;;#ASMEND
	;;#ASMSTART
	v_dot2_f32_f16 v10, v58, v66, v10
	;;#ASMEND
	;;#ASMSTART
	v_dot2_f32_f16 v10, v59, v67, v10
	;;#ASMEND
	;; [unrolled: 13-line block ×5, first 2 shown]
	;;#ASMSTART
	v_dot2_f32_f16 v11, v80, v64, v11
	;;#ASMEND
	;;#ASMSTART
	v_dot2_f32_f16 v11, v81, v65, v11
	;;#ASMEND
	;; [unrolled: 3-line block ×12, first 2 shown]
	ds_load_b128 v[56:59], v50 offset:32
	ds_load_b128 v[60:63], v45 offset:32
	;; [unrolled: 1-line block ×6, first 2 shown]
	s_wait_dscnt 0x4
	;;#ASMSTART
	v_dot2_f32_f16 v6, v56, v60, v6
	;;#ASMEND
	;;#ASMSTART
	v_dot2_f32_f16 v6, v57, v61, v6
	;;#ASMEND
	;;#ASMSTART
	v_dot2_f32_f16 v6, v58, v62, v6
	;;#ASMEND
	;;#ASMSTART
	v_dot2_f32_f16 v6, v59, v63, v6
	;;#ASMEND
	s_wait_dscnt 0x3
	;;#ASMSTART
	v_dot2_f32_f16 v10, v56, v64, v10
	;;#ASMEND
	;;#ASMSTART
	v_dot2_f32_f16 v10, v57, v65, v10
	;;#ASMEND
	;;#ASMSTART
	v_dot2_f32_f16 v10, v58, v66, v10
	;;#ASMEND
	;;#ASMSTART
	v_dot2_f32_f16 v10, v59, v67, v10
	;;#ASMEND
	;; [unrolled: 13-line block ×5, first 2 shown]
	;;#ASMSTART
	v_dot2_f32_f16 v11, v80, v64, v11
	;;#ASMEND
	;;#ASMSTART
	v_dot2_f32_f16 v11, v81, v65, v11
	;;#ASMEND
	;;#ASMSTART
	v_dot2_f32_f16 v11, v82, v66, v11
	;;#ASMEND
	;;#ASMSTART
	v_dot2_f32_f16 v11, v83, v67, v11
	;;#ASMEND
	;;#ASMSTART
	v_dot2_f32_f16 v9, v80, v68, v9
	;;#ASMEND
	;;#ASMSTART
	v_dot2_f32_f16 v9, v81, v69, v9
	;;#ASMEND
	;;#ASMSTART
	v_dot2_f32_f16 v9, v82, v70, v9
	;;#ASMEND
	;;#ASMSTART
	v_dot2_f32_f16 v9, v83, v71, v9
	;;#ASMEND
	;;#ASMSTART
	v_dot2_f32_f16 v78, v80, v72, v78
	;;#ASMEND
	;;#ASMSTART
	v_dot2_f32_f16 v78, v81, v73, v78
	;;#ASMEND
	;;#ASMSTART
	v_dot2_f32_f16 v78, v82, v74, v78
	;;#ASMEND
	;;#ASMSTART
	v_dot2_f32_f16 v78, v83, v75, v78
	;;#ASMEND
	ds_load_b128 v[56:59], v50 offset:48
	ds_load_b128 v[60:63], v45 offset:48
	;; [unrolled: 1-line block ×6, first 2 shown]
	s_wait_dscnt 0x4
	;;#ASMSTART
	v_dot2_f32_f16 v6, v56, v60, v6
	;;#ASMEND
	;;#ASMSTART
	v_dot2_f32_f16 v6, v57, v61, v6
	;;#ASMEND
	;;#ASMSTART
	v_dot2_f32_f16 v6, v58, v62, v6
	;;#ASMEND
	;;#ASMSTART
	v_dot2_f32_f16 v6, v59, v63, v6
	;;#ASMEND
	s_wait_dscnt 0x3
	;;#ASMSTART
	v_dot2_f32_f16 v10, v56, v64, v10
	;;#ASMEND
	;;#ASMSTART
	v_dot2_f32_f16 v10, v57, v65, v10
	;;#ASMEND
	;;#ASMSTART
	v_dot2_f32_f16 v10, v58, v66, v10
	;;#ASMEND
	;;#ASMSTART
	v_dot2_f32_f16 v10, v59, v67, v10
	;;#ASMEND
	;; [unrolled: 13-line block ×5, first 2 shown]
	;;#ASMSTART
	v_dot2_f32_f16 v11, v80, v64, v11
	;;#ASMEND
	;;#ASMSTART
	v_dot2_f32_f16 v11, v81, v65, v11
	;;#ASMEND
	;; [unrolled: 3-line block ×12, first 2 shown]
	ds_load_b128 v[56:59], v50 offset:64
	ds_load_b128 v[60:63], v45 offset:64
	;; [unrolled: 1-line block ×6, first 2 shown]
	s_wait_dscnt 0x4
	;;#ASMSTART
	v_dot2_f32_f16 v6, v56, v60, v6
	;;#ASMEND
	;;#ASMSTART
	v_dot2_f32_f16 v6, v57, v61, v6
	;;#ASMEND
	;;#ASMSTART
	v_dot2_f32_f16 v6, v58, v62, v6
	;;#ASMEND
	;;#ASMSTART
	v_dot2_f32_f16 v6, v59, v63, v6
	;;#ASMEND
	s_wait_dscnt 0x3
	;;#ASMSTART
	v_dot2_f32_f16 v10, v56, v64, v10
	;;#ASMEND
	;;#ASMSTART
	v_dot2_f32_f16 v10, v57, v65, v10
	;;#ASMEND
	;;#ASMSTART
	v_dot2_f32_f16 v10, v58, v66, v10
	;;#ASMEND
	;;#ASMSTART
	v_dot2_f32_f16 v10, v59, v67, v10
	;;#ASMEND
	;; [unrolled: 13-line block ×5, first 2 shown]
	;;#ASMSTART
	v_dot2_f32_f16 v11, v80, v64, v11
	;;#ASMEND
	;;#ASMSTART
	v_dot2_f32_f16 v11, v81, v65, v11
	;;#ASMEND
	;;#ASMSTART
	v_dot2_f32_f16 v11, v82, v66, v11
	;;#ASMEND
	;;#ASMSTART
	v_dot2_f32_f16 v11, v83, v67, v11
	;;#ASMEND
	;;#ASMSTART
	v_dot2_f32_f16 v9, v80, v68, v9
	;;#ASMEND
	;;#ASMSTART
	v_dot2_f32_f16 v9, v81, v69, v9
	;;#ASMEND
	;;#ASMSTART
	v_dot2_f32_f16 v9, v82, v70, v9
	;;#ASMEND
	;;#ASMSTART
	v_dot2_f32_f16 v9, v83, v71, v9
	;;#ASMEND
	;;#ASMSTART
	v_dot2_f32_f16 v78, v80, v72, v78
	;;#ASMEND
	;;#ASMSTART
	v_dot2_f32_f16 v78, v81, v73, v78
	;;#ASMEND
	;;#ASMSTART
	v_dot2_f32_f16 v78, v82, v74, v78
	;;#ASMEND
	;;#ASMSTART
	v_dot2_f32_f16 v78, v83, v75, v78
	;;#ASMEND
	ds_load_b128 v[56:59], v50 offset:80
	ds_load_b128 v[60:63], v45 offset:80
	;; [unrolled: 1-line block ×6, first 2 shown]
	s_wait_dscnt 0x4
	;;#ASMSTART
	v_dot2_f32_f16 v6, v56, v60, v6
	;;#ASMEND
	;;#ASMSTART
	v_dot2_f32_f16 v6, v57, v61, v6
	;;#ASMEND
	;;#ASMSTART
	v_dot2_f32_f16 v6, v58, v62, v6
	;;#ASMEND
	;;#ASMSTART
	v_dot2_f32_f16 v6, v59, v63, v6
	;;#ASMEND
	s_wait_dscnt 0x3
	;;#ASMSTART
	v_dot2_f32_f16 v10, v56, v64, v10
	;;#ASMEND
	;;#ASMSTART
	v_dot2_f32_f16 v10, v57, v65, v10
	;;#ASMEND
	;;#ASMSTART
	v_dot2_f32_f16 v10, v58, v66, v10
	;;#ASMEND
	;;#ASMSTART
	v_dot2_f32_f16 v10, v59, v67, v10
	;;#ASMEND
	;; [unrolled: 13-line block ×5, first 2 shown]
	;;#ASMSTART
	v_dot2_f32_f16 v11, v80, v64, v11
	;;#ASMEND
	;;#ASMSTART
	v_dot2_f32_f16 v11, v81, v65, v11
	;;#ASMEND
	;; [unrolled: 3-line block ×12, first 2 shown]
	ds_load_b128 v[56:59], v50 offset:96
	ds_load_b128 v[60:63], v45 offset:96
	;; [unrolled: 1-line block ×6, first 2 shown]
	s_wait_dscnt 0x4
	;;#ASMSTART
	v_dot2_f32_f16 v6, v56, v60, v6
	;;#ASMEND
	;;#ASMSTART
	v_dot2_f32_f16 v6, v57, v61, v6
	;;#ASMEND
	;;#ASMSTART
	v_dot2_f32_f16 v6, v58, v62, v6
	;;#ASMEND
	;;#ASMSTART
	v_dot2_f32_f16 v6, v59, v63, v6
	;;#ASMEND
	s_wait_dscnt 0x3
	;;#ASMSTART
	v_dot2_f32_f16 v10, v56, v64, v10
	;;#ASMEND
	;;#ASMSTART
	v_dot2_f32_f16 v10, v57, v65, v10
	;;#ASMEND
	;;#ASMSTART
	v_dot2_f32_f16 v10, v58, v66, v10
	;;#ASMEND
	;;#ASMSTART
	v_dot2_f32_f16 v10, v59, v67, v10
	;;#ASMEND
	s_wait_dscnt 0x2
	;;#ASMSTART
	v_dot2_f32_f16 v8, v56, v68, v8
	;;#ASMEND
	;;#ASMSTART
	v_dot2_f32_f16 v8, v57, v69, v8
	;;#ASMEND
	;;#ASMSTART
	v_dot2_f32_f16 v8, v58, v70, v8
	;;#ASMEND
	;;#ASMSTART
	v_dot2_f32_f16 v8, v59, v71, v8
	;;#ASMEND
	s_wait_dscnt 0x1
	;;#ASMSTART
	v_dot2_f32_f16 v77, v56, v72, v77
	;;#ASMEND
	;;#ASMSTART
	v_dot2_f32_f16 v77, v57, v73, v77
	;;#ASMEND
	;;#ASMSTART
	v_dot2_f32_f16 v77, v58, v74, v77
	;;#ASMEND
	;;#ASMSTART
	v_dot2_f32_f16 v77, v59, v75, v77
	;;#ASMEND
	s_wait_dscnt 0x0
	;;#ASMSTART
	v_dot2_f32_f16 v7, v80, v60, v7
	;;#ASMEND
	;;#ASMSTART
	v_dot2_f32_f16 v7, v81, v61, v7
	;;#ASMEND
	;;#ASMSTART
	v_dot2_f32_f16 v7, v82, v62, v7
	;;#ASMEND
	;;#ASMSTART
	v_dot2_f32_f16 v7, v83, v63, v7
	;;#ASMEND
	;;#ASMSTART
	v_dot2_f32_f16 v11, v80, v64, v11
	;;#ASMEND
	;;#ASMSTART
	v_dot2_f32_f16 v11, v81, v65, v11
	;;#ASMEND
	;; [unrolled: 3-line block ×12, first 2 shown]
	ds_load_b128 v[56:59], v50 offset:112
	ds_load_b128 v[60:63], v45 offset:112
	;; [unrolled: 1-line block ×6, first 2 shown]
	s_wait_dscnt 0x4
	;;#ASMSTART
	v_dot2_f32_f16 v6, v56, v60, v6
	;;#ASMEND
	;;#ASMSTART
	v_dot2_f32_f16 v6, v57, v61, v6
	;;#ASMEND
	;;#ASMSTART
	v_dot2_f32_f16 v6, v58, v62, v6
	;;#ASMEND
	;;#ASMSTART
	v_dot2_f32_f16 v6, v59, v63, v6
	;;#ASMEND
	s_wait_dscnt 0x3
	;;#ASMSTART
	v_dot2_f32_f16 v10, v56, v64, v10
	;;#ASMEND
	;;#ASMSTART
	v_dot2_f32_f16 v10, v57, v65, v10
	;;#ASMEND
	;;#ASMSTART
	v_dot2_f32_f16 v10, v58, v66, v10
	;;#ASMEND
	;;#ASMSTART
	v_dot2_f32_f16 v10, v59, v67, v10
	;;#ASMEND
	s_wait_dscnt 0x2
	;;#ASMSTART
	v_dot2_f32_f16 v8, v56, v68, v8
	;;#ASMEND
	;;#ASMSTART
	v_dot2_f32_f16 v8, v57, v69, v8
	;;#ASMEND
	;;#ASMSTART
	v_dot2_f32_f16 v8, v58, v70, v8
	;;#ASMEND
	;;#ASMSTART
	v_dot2_f32_f16 v8, v59, v71, v8
	;;#ASMEND
	s_wait_dscnt 0x1
	;;#ASMSTART
	v_dot2_f32_f16 v77, v56, v72, v77
	;;#ASMEND
	;;#ASMSTART
	v_dot2_f32_f16 v77, v57, v73, v77
	;;#ASMEND
	;;#ASMSTART
	v_dot2_f32_f16 v77, v58, v74, v77
	;;#ASMEND
	;;#ASMSTART
	v_dot2_f32_f16 v77, v59, v75, v77
	;;#ASMEND
	s_wait_dscnt 0x0
	;;#ASMSTART
	v_dot2_f32_f16 v7, v80, v60, v7
	;;#ASMEND
	;;#ASMSTART
	v_dot2_f32_f16 v7, v81, v61, v7
	;;#ASMEND
	;;#ASMSTART
	v_dot2_f32_f16 v7, v82, v62, v7
	;;#ASMEND
	;;#ASMSTART
	v_dot2_f32_f16 v7, v83, v63, v7
	;;#ASMEND
	;;#ASMSTART
	v_dot2_f32_f16 v11, v80, v64, v11
	;;#ASMEND
	;;#ASMSTART
	v_dot2_f32_f16 v11, v81, v65, v11
	;;#ASMEND
	;; [unrolled: 3-line block ×12, first 2 shown]
	s_barrier_signal -1
	s_barrier_wait -1
	s_clause 0x1
	global_load_b128 v[56:59], v[0:1], off offset:128
	global_load_b128 v[60:63], v[2:3], off offset:128
	s_wait_loadcnt 0x1
	ds_store_b128 v48, v[56:59]
	s_wait_loadcnt 0x0
	ds_store_b128 v49, v[60:63]
	s_wait_dscnt 0x0
	s_barrier_signal -1
	s_barrier_wait -1
	ds_load_b128 v[56:59], v50
	ds_load_b128 v[60:63], v45 offset:128
	ds_load_b128 v[64:67], v45 offset:512
	;; [unrolled: 1-line block ×5, first 2 shown]
	s_wait_dscnt 0x4
	;;#ASMSTART
	v_dot2_f32_f16 v6, v56, v60, v6
	;;#ASMEND
	;;#ASMSTART
	v_dot2_f32_f16 v6, v57, v61, v6
	;;#ASMEND
	;;#ASMSTART
	v_dot2_f32_f16 v6, v58, v62, v6
	;;#ASMEND
	;;#ASMSTART
	v_dot2_f32_f16 v6, v59, v63, v6
	;;#ASMEND
	s_wait_dscnt 0x3
	;;#ASMSTART
	v_dot2_f32_f16 v10, v56, v64, v10
	;;#ASMEND
	;;#ASMSTART
	v_dot2_f32_f16 v10, v57, v65, v10
	;;#ASMEND
	;;#ASMSTART
	v_dot2_f32_f16 v10, v58, v66, v10
	;;#ASMEND
	;;#ASMSTART
	v_dot2_f32_f16 v10, v59, v67, v10
	;;#ASMEND
	;; [unrolled: 13-line block ×5, first 2 shown]
	;;#ASMSTART
	v_dot2_f32_f16 v11, v80, v64, v11
	;;#ASMEND
	;;#ASMSTART
	v_dot2_f32_f16 v11, v81, v65, v11
	;;#ASMEND
	;;#ASMSTART
	v_dot2_f32_f16 v11, v82, v66, v11
	;;#ASMEND
	;;#ASMSTART
	v_dot2_f32_f16 v11, v83, v67, v11
	;;#ASMEND
	;;#ASMSTART
	v_dot2_f32_f16 v9, v80, v68, v9
	;;#ASMEND
	;;#ASMSTART
	v_dot2_f32_f16 v9, v81, v69, v9
	;;#ASMEND
	;;#ASMSTART
	v_dot2_f32_f16 v9, v82, v70, v9
	;;#ASMEND
	;;#ASMSTART
	v_dot2_f32_f16 v9, v83, v71, v9
	;;#ASMEND
	;;#ASMSTART
	v_dot2_f32_f16 v78, v80, v72, v78
	;;#ASMEND
	;;#ASMSTART
	v_dot2_f32_f16 v78, v81, v73, v78
	;;#ASMEND
	;;#ASMSTART
	v_dot2_f32_f16 v78, v82, v74, v78
	;;#ASMEND
	;;#ASMSTART
	v_dot2_f32_f16 v78, v83, v75, v78
	;;#ASMEND
	ds_load_b128 v[56:59], v50 offset:16
	ds_load_b128 v[60:63], v45 offset:144
	;; [unrolled: 1-line block ×6, first 2 shown]
	s_wait_dscnt 0x4
	;;#ASMSTART
	v_dot2_f32_f16 v6, v56, v60, v6
	;;#ASMEND
	;;#ASMSTART
	v_dot2_f32_f16 v6, v57, v61, v6
	;;#ASMEND
	;;#ASMSTART
	v_dot2_f32_f16 v6, v58, v62, v6
	;;#ASMEND
	;;#ASMSTART
	v_dot2_f32_f16 v6, v59, v63, v6
	;;#ASMEND
	s_wait_dscnt 0x3
	;;#ASMSTART
	v_dot2_f32_f16 v10, v56, v64, v10
	;;#ASMEND
	;;#ASMSTART
	v_dot2_f32_f16 v10, v57, v65, v10
	;;#ASMEND
	;;#ASMSTART
	v_dot2_f32_f16 v10, v58, v66, v10
	;;#ASMEND
	;;#ASMSTART
	v_dot2_f32_f16 v10, v59, v67, v10
	;;#ASMEND
	;; [unrolled: 13-line block ×5, first 2 shown]
	;;#ASMSTART
	v_dot2_f32_f16 v11, v80, v64, v11
	;;#ASMEND
	;;#ASMSTART
	v_dot2_f32_f16 v11, v81, v65, v11
	;;#ASMEND
	;; [unrolled: 3-line block ×12, first 2 shown]
	ds_load_b128 v[56:59], v50 offset:32
	ds_load_b128 v[60:63], v45 offset:160
	;; [unrolled: 1-line block ×6, first 2 shown]
	s_wait_dscnt 0x4
	;;#ASMSTART
	v_dot2_f32_f16 v6, v56, v60, v6
	;;#ASMEND
	;;#ASMSTART
	v_dot2_f32_f16 v6, v57, v61, v6
	;;#ASMEND
	;;#ASMSTART
	v_dot2_f32_f16 v6, v58, v62, v6
	;;#ASMEND
	;;#ASMSTART
	v_dot2_f32_f16 v6, v59, v63, v6
	;;#ASMEND
	s_wait_dscnt 0x3
	;;#ASMSTART
	v_dot2_f32_f16 v10, v56, v64, v10
	;;#ASMEND
	;;#ASMSTART
	v_dot2_f32_f16 v10, v57, v65, v10
	;;#ASMEND
	;;#ASMSTART
	v_dot2_f32_f16 v10, v58, v66, v10
	;;#ASMEND
	;;#ASMSTART
	v_dot2_f32_f16 v10, v59, v67, v10
	;;#ASMEND
	s_wait_dscnt 0x2
	;;#ASMSTART
	v_dot2_f32_f16 v8, v56, v68, v8
	;;#ASMEND
	;;#ASMSTART
	v_dot2_f32_f16 v8, v57, v69, v8
	;;#ASMEND
	;;#ASMSTART
	v_dot2_f32_f16 v8, v58, v70, v8
	;;#ASMEND
	;;#ASMSTART
	v_dot2_f32_f16 v8, v59, v71, v8
	;;#ASMEND
	s_wait_dscnt 0x1
	;;#ASMSTART
	v_dot2_f32_f16 v77, v56, v72, v77
	;;#ASMEND
	;;#ASMSTART
	v_dot2_f32_f16 v77, v57, v73, v77
	;;#ASMEND
	;;#ASMSTART
	v_dot2_f32_f16 v77, v58, v74, v77
	;;#ASMEND
	;;#ASMSTART
	v_dot2_f32_f16 v77, v59, v75, v77
	;;#ASMEND
	s_wait_dscnt 0x0
	;;#ASMSTART
	v_dot2_f32_f16 v7, v80, v60, v7
	;;#ASMEND
	;;#ASMSTART
	v_dot2_f32_f16 v7, v81, v61, v7
	;;#ASMEND
	;;#ASMSTART
	v_dot2_f32_f16 v7, v82, v62, v7
	;;#ASMEND
	;;#ASMSTART
	v_dot2_f32_f16 v7, v83, v63, v7
	;;#ASMEND
	;;#ASMSTART
	v_dot2_f32_f16 v11, v80, v64, v11
	;;#ASMEND
	;;#ASMSTART
	v_dot2_f32_f16 v11, v81, v65, v11
	;;#ASMEND
	;; [unrolled: 3-line block ×12, first 2 shown]
	ds_load_b128 v[56:59], v50 offset:48
	ds_load_b128 v[60:63], v45 offset:176
	;; [unrolled: 1-line block ×6, first 2 shown]
	s_wait_dscnt 0x4
	;;#ASMSTART
	v_dot2_f32_f16 v6, v56, v60, v6
	;;#ASMEND
	;;#ASMSTART
	v_dot2_f32_f16 v6, v57, v61, v6
	;;#ASMEND
	;;#ASMSTART
	v_dot2_f32_f16 v6, v58, v62, v6
	;;#ASMEND
	;;#ASMSTART
	v_dot2_f32_f16 v6, v59, v63, v6
	;;#ASMEND
	s_wait_dscnt 0x3
	;;#ASMSTART
	v_dot2_f32_f16 v10, v56, v64, v10
	;;#ASMEND
	;;#ASMSTART
	v_dot2_f32_f16 v10, v57, v65, v10
	;;#ASMEND
	;;#ASMSTART
	v_dot2_f32_f16 v10, v58, v66, v10
	;;#ASMEND
	;;#ASMSTART
	v_dot2_f32_f16 v10, v59, v67, v10
	;;#ASMEND
	;; [unrolled: 13-line block ×5, first 2 shown]
	;;#ASMSTART
	v_dot2_f32_f16 v11, v80, v64, v11
	;;#ASMEND
	;;#ASMSTART
	v_dot2_f32_f16 v11, v81, v65, v11
	;;#ASMEND
	;;#ASMSTART
	v_dot2_f32_f16 v11, v82, v66, v11
	;;#ASMEND
	;;#ASMSTART
	v_dot2_f32_f16 v11, v83, v67, v11
	;;#ASMEND
	;;#ASMSTART
	v_dot2_f32_f16 v9, v80, v68, v9
	;;#ASMEND
	;;#ASMSTART
	v_dot2_f32_f16 v9, v81, v69, v9
	;;#ASMEND
	;;#ASMSTART
	v_dot2_f32_f16 v9, v82, v70, v9
	;;#ASMEND
	;;#ASMSTART
	v_dot2_f32_f16 v9, v83, v71, v9
	;;#ASMEND
	;;#ASMSTART
	v_dot2_f32_f16 v78, v80, v72, v78
	;;#ASMEND
	;;#ASMSTART
	v_dot2_f32_f16 v78, v81, v73, v78
	;;#ASMEND
	;;#ASMSTART
	v_dot2_f32_f16 v78, v82, v74, v78
	;;#ASMEND
	;;#ASMSTART
	v_dot2_f32_f16 v78, v83, v75, v78
	;;#ASMEND
	ds_load_b128 v[56:59], v50 offset:64
	ds_load_b128 v[60:63], v45 offset:192
	;; [unrolled: 1-line block ×6, first 2 shown]
	s_wait_dscnt 0x4
	;;#ASMSTART
	v_dot2_f32_f16 v6, v56, v60, v6
	;;#ASMEND
	;;#ASMSTART
	v_dot2_f32_f16 v6, v57, v61, v6
	;;#ASMEND
	;;#ASMSTART
	v_dot2_f32_f16 v6, v58, v62, v6
	;;#ASMEND
	;;#ASMSTART
	v_dot2_f32_f16 v6, v59, v63, v6
	;;#ASMEND
	s_wait_dscnt 0x3
	;;#ASMSTART
	v_dot2_f32_f16 v10, v56, v64, v10
	;;#ASMEND
	;;#ASMSTART
	v_dot2_f32_f16 v10, v57, v65, v10
	;;#ASMEND
	;;#ASMSTART
	v_dot2_f32_f16 v10, v58, v66, v10
	;;#ASMEND
	;;#ASMSTART
	v_dot2_f32_f16 v10, v59, v67, v10
	;;#ASMEND
	;; [unrolled: 13-line block ×5, first 2 shown]
	;;#ASMSTART
	v_dot2_f32_f16 v11, v80, v64, v11
	;;#ASMEND
	;;#ASMSTART
	v_dot2_f32_f16 v11, v81, v65, v11
	;;#ASMEND
	;; [unrolled: 3-line block ×12, first 2 shown]
	ds_load_b128 v[56:59], v50 offset:80
	ds_load_b128 v[60:63], v45 offset:208
	;; [unrolled: 1-line block ×6, first 2 shown]
	s_wait_dscnt 0x4
	;;#ASMSTART
	v_dot2_f32_f16 v6, v56, v60, v6
	;;#ASMEND
	;;#ASMSTART
	v_dot2_f32_f16 v6, v57, v61, v6
	;;#ASMEND
	;;#ASMSTART
	v_dot2_f32_f16 v6, v58, v62, v6
	;;#ASMEND
	;;#ASMSTART
	v_dot2_f32_f16 v6, v59, v63, v6
	;;#ASMEND
	s_wait_dscnt 0x3
	;;#ASMSTART
	v_dot2_f32_f16 v10, v56, v64, v10
	;;#ASMEND
	;;#ASMSTART
	v_dot2_f32_f16 v10, v57, v65, v10
	;;#ASMEND
	;;#ASMSTART
	v_dot2_f32_f16 v10, v58, v66, v10
	;;#ASMEND
	;;#ASMSTART
	v_dot2_f32_f16 v10, v59, v67, v10
	;;#ASMEND
	;; [unrolled: 13-line block ×5, first 2 shown]
	;;#ASMSTART
	v_dot2_f32_f16 v11, v80, v64, v11
	;;#ASMEND
	;;#ASMSTART
	v_dot2_f32_f16 v11, v81, v65, v11
	;;#ASMEND
	;; [unrolled: 3-line block ×12, first 2 shown]
	ds_load_b128 v[56:59], v50 offset:96
	ds_load_b128 v[60:63], v45 offset:224
	;; [unrolled: 1-line block ×6, first 2 shown]
	s_wait_dscnt 0x4
	;;#ASMSTART
	v_dot2_f32_f16 v6, v56, v60, v6
	;;#ASMEND
	;;#ASMSTART
	v_dot2_f32_f16 v6, v57, v61, v6
	;;#ASMEND
	;;#ASMSTART
	v_dot2_f32_f16 v6, v58, v62, v6
	;;#ASMEND
	;;#ASMSTART
	v_dot2_f32_f16 v6, v59, v63, v6
	;;#ASMEND
	s_wait_dscnt 0x3
	;;#ASMSTART
	v_dot2_f32_f16 v10, v56, v64, v10
	;;#ASMEND
	;;#ASMSTART
	v_dot2_f32_f16 v10, v57, v65, v10
	;;#ASMEND
	;;#ASMSTART
	v_dot2_f32_f16 v10, v58, v66, v10
	;;#ASMEND
	;;#ASMSTART
	v_dot2_f32_f16 v10, v59, v67, v10
	;;#ASMEND
	;; [unrolled: 13-line block ×5, first 2 shown]
	;;#ASMSTART
	v_dot2_f32_f16 v11, v80, v64, v11
	;;#ASMEND
	;;#ASMSTART
	v_dot2_f32_f16 v11, v81, v65, v11
	;;#ASMEND
	;; [unrolled: 3-line block ×12, first 2 shown]
	ds_load_b128 v[56:59], v50 offset:112
	ds_load_b128 v[60:63], v45 offset:240
	;; [unrolled: 1-line block ×6, first 2 shown]
	s_wait_dscnt 0x4
	;;#ASMSTART
	v_dot2_f32_f16 v6, v56, v60, v6
	;;#ASMEND
	;;#ASMSTART
	v_dot2_f32_f16 v6, v57, v61, v6
	;;#ASMEND
	;;#ASMSTART
	v_dot2_f32_f16 v6, v58, v62, v6
	;;#ASMEND
	;;#ASMSTART
	v_dot2_f32_f16 v6, v59, v63, v6
	;;#ASMEND
	s_wait_dscnt 0x3
	;;#ASMSTART
	v_dot2_f32_f16 v10, v56, v64, v10
	;;#ASMEND
	;;#ASMSTART
	v_dot2_f32_f16 v10, v57, v65, v10
	;;#ASMEND
	;;#ASMSTART
	v_dot2_f32_f16 v10, v58, v66, v10
	;;#ASMEND
	;;#ASMSTART
	v_dot2_f32_f16 v10, v59, v67, v10
	;;#ASMEND
	;; [unrolled: 13-line block ×5, first 2 shown]
	;;#ASMSTART
	v_dot2_f32_f16 v11, v80, v64, v11
	;;#ASMEND
	;;#ASMSTART
	v_dot2_f32_f16 v11, v81, v65, v11
	;;#ASMEND
	;; [unrolled: 3-line block ×12, first 2 shown]
	s_barrier_signal -1
	s_barrier_wait -1
	s_clause 0x1
	global_load_b128 v[56:59], v[0:1], off offset:256
	global_load_b128 v[60:63], v[2:3], off offset:256
	s_wait_loadcnt 0x1
	ds_store_b128 v48, v[56:59]
	s_wait_loadcnt 0x0
	ds_store_b128 v49, v[60:63]
	s_wait_dscnt 0x0
	s_barrier_signal -1
	s_barrier_wait -1
	ds_load_b128 v[0:3], v50
	ds_load_b128 v[56:59], v45 offset:256
	ds_load_b128 v[60:63], v45 offset:640
	;; [unrolled: 1-line block ×5, first 2 shown]
	s_wait_dscnt 0x4
	;;#ASMSTART
	v_dot2_f32_f16 v6, v0, v56, v6
	;;#ASMEND
	;;#ASMSTART
	v_dot2_f32_f16 v6, v1, v57, v6
	;;#ASMEND
	;;#ASMSTART
	v_dot2_f32_f16 v6, v2, v58, v6
	;;#ASMEND
	;;#ASMSTART
	v_dot2_f32_f16 v6, v3, v59, v6
	;;#ASMEND
	s_wait_dscnt 0x3
	;;#ASMSTART
	v_dot2_f32_f16 v10, v0, v60, v10
	;;#ASMEND
	;;#ASMSTART
	v_dot2_f32_f16 v10, v1, v61, v10
	;;#ASMEND
	;;#ASMSTART
	v_dot2_f32_f16 v10, v2, v62, v10
	;;#ASMEND
	;;#ASMSTART
	v_dot2_f32_f16 v10, v3, v63, v10
	;;#ASMEND
	;; [unrolled: 13-line block ×5, first 2 shown]
	;;#ASMSTART
	v_dot2_f32_f16 v11, v72, v60, v11
	;;#ASMEND
	;;#ASMSTART
	v_dot2_f32_f16 v11, v73, v61, v11
	;;#ASMEND
	;; [unrolled: 3-line block ×12, first 2 shown]
	ds_load_b128 v[0:3], v50 offset:16
	ds_load_b128 v[56:59], v45 offset:272
	;; [unrolled: 1-line block ×6, first 2 shown]
	s_wait_dscnt 0x4
	;;#ASMSTART
	v_dot2_f32_f16 v6, v0, v56, v6
	;;#ASMEND
	;;#ASMSTART
	v_dot2_f32_f16 v6, v1, v57, v6
	;;#ASMEND
	;;#ASMSTART
	v_dot2_f32_f16 v6, v2, v58, v6
	;;#ASMEND
	;;#ASMSTART
	v_dot2_f32_f16 v6, v3, v59, v6
	;;#ASMEND
	s_wait_dscnt 0x3
	;;#ASMSTART
	v_dot2_f32_f16 v10, v0, v60, v10
	;;#ASMEND
	;;#ASMSTART
	v_dot2_f32_f16 v10, v1, v61, v10
	;;#ASMEND
	;;#ASMSTART
	v_dot2_f32_f16 v10, v2, v62, v10
	;;#ASMEND
	;;#ASMSTART
	v_dot2_f32_f16 v10, v3, v63, v10
	;;#ASMEND
	;; [unrolled: 13-line block ×5, first 2 shown]
	;;#ASMSTART
	v_dot2_f32_f16 v11, v72, v60, v11
	;;#ASMEND
	;;#ASMSTART
	v_dot2_f32_f16 v11, v73, v61, v11
	;;#ASMEND
	;;#ASMSTART
	v_dot2_f32_f16 v11, v74, v62, v11
	;;#ASMEND
	;;#ASMSTART
	v_dot2_f32_f16 v11, v75, v63, v11
	;;#ASMEND
	;;#ASMSTART
	v_dot2_f32_f16 v9, v72, v64, v9
	;;#ASMEND
	;;#ASMSTART
	v_dot2_f32_f16 v9, v73, v65, v9
	;;#ASMEND
	;;#ASMSTART
	v_dot2_f32_f16 v9, v74, v66, v9
	;;#ASMEND
	;;#ASMSTART
	v_dot2_f32_f16 v9, v75, v67, v9
	;;#ASMEND
	;;#ASMSTART
	v_dot2_f32_f16 v78, v72, v68, v78
	;;#ASMEND
	;;#ASMSTART
	v_dot2_f32_f16 v78, v73, v69, v78
	;;#ASMEND
	;;#ASMSTART
	v_dot2_f32_f16 v78, v74, v70, v78
	;;#ASMEND
	;;#ASMSTART
	v_dot2_f32_f16 v78, v75, v71, v78
	;;#ASMEND
	ds_load_b128 v[0:3], v50 offset:32
	ds_load_b128 v[56:59], v45 offset:288
	;; [unrolled: 1-line block ×6, first 2 shown]
	s_wait_dscnt 0x4
	;;#ASMSTART
	v_dot2_f32_f16 v6, v0, v56, v6
	;;#ASMEND
	;;#ASMSTART
	v_dot2_f32_f16 v6, v1, v57, v6
	;;#ASMEND
	;;#ASMSTART
	v_dot2_f32_f16 v6, v2, v58, v6
	;;#ASMEND
	;;#ASMSTART
	v_dot2_f32_f16 v6, v3, v59, v6
	;;#ASMEND
	s_wait_dscnt 0x3
	;;#ASMSTART
	v_dot2_f32_f16 v10, v0, v60, v10
	;;#ASMEND
	;;#ASMSTART
	v_dot2_f32_f16 v10, v1, v61, v10
	;;#ASMEND
	;;#ASMSTART
	v_dot2_f32_f16 v10, v2, v62, v10
	;;#ASMEND
	;;#ASMSTART
	v_dot2_f32_f16 v10, v3, v63, v10
	;;#ASMEND
	;; [unrolled: 13-line block ×5, first 2 shown]
	;;#ASMSTART
	v_dot2_f32_f16 v11, v72, v60, v11
	;;#ASMEND
	;;#ASMSTART
	v_dot2_f32_f16 v11, v73, v61, v11
	;;#ASMEND
	;; [unrolled: 3-line block ×12, first 2 shown]
	ds_load_b128 v[0:3], v50 offset:48
	ds_load_b128 v[56:59], v45 offset:304
	;; [unrolled: 1-line block ×6, first 2 shown]
	s_wait_dscnt 0x4
	;;#ASMSTART
	v_dot2_f32_f16 v6, v0, v56, v6
	;;#ASMEND
	;;#ASMSTART
	v_dot2_f32_f16 v6, v1, v57, v6
	;;#ASMEND
	;;#ASMSTART
	v_dot2_f32_f16 v6, v2, v58, v6
	;;#ASMEND
	;;#ASMSTART
	v_dot2_f32_f16 v6, v3, v59, v6
	;;#ASMEND
	s_wait_dscnt 0x3
	;;#ASMSTART
	v_dot2_f32_f16 v10, v0, v60, v10
	;;#ASMEND
	;;#ASMSTART
	v_dot2_f32_f16 v10, v1, v61, v10
	;;#ASMEND
	;;#ASMSTART
	v_dot2_f32_f16 v10, v2, v62, v10
	;;#ASMEND
	;;#ASMSTART
	v_dot2_f32_f16 v10, v3, v63, v10
	;;#ASMEND
	;; [unrolled: 13-line block ×5, first 2 shown]
	;;#ASMSTART
	v_dot2_f32_f16 v11, v72, v60, v11
	;;#ASMEND
	;;#ASMSTART
	v_dot2_f32_f16 v11, v73, v61, v11
	;;#ASMEND
	;; [unrolled: 3-line block ×12, first 2 shown]
	ds_load_b128 v[0:3], v50 offset:64
	ds_load_b128 v[56:59], v45 offset:320
	;; [unrolled: 1-line block ×6, first 2 shown]
	s_wait_dscnt 0x4
	;;#ASMSTART
	v_dot2_f32_f16 v6, v0, v56, v6
	;;#ASMEND
	;;#ASMSTART
	v_dot2_f32_f16 v6, v1, v57, v6
	;;#ASMEND
	;;#ASMSTART
	v_dot2_f32_f16 v6, v2, v58, v6
	;;#ASMEND
	;;#ASMSTART
	v_dot2_f32_f16 v6, v3, v59, v6
	;;#ASMEND
	s_wait_dscnt 0x3
	;;#ASMSTART
	v_dot2_f32_f16 v10, v0, v60, v10
	;;#ASMEND
	;;#ASMSTART
	v_dot2_f32_f16 v10, v1, v61, v10
	;;#ASMEND
	;;#ASMSTART
	v_dot2_f32_f16 v10, v2, v62, v10
	;;#ASMEND
	;;#ASMSTART
	v_dot2_f32_f16 v10, v3, v63, v10
	;;#ASMEND
	;; [unrolled: 13-line block ×5, first 2 shown]
	;;#ASMSTART
	v_dot2_f32_f16 v11, v72, v60, v11
	;;#ASMEND
	;;#ASMSTART
	v_dot2_f32_f16 v11, v73, v61, v11
	;;#ASMEND
	;;#ASMSTART
	v_dot2_f32_f16 v11, v74, v62, v11
	;;#ASMEND
	;;#ASMSTART
	v_dot2_f32_f16 v11, v75, v63, v11
	;;#ASMEND
	;;#ASMSTART
	v_dot2_f32_f16 v9, v72, v64, v9
	;;#ASMEND
	;;#ASMSTART
	v_dot2_f32_f16 v9, v73, v65, v9
	;;#ASMEND
	;;#ASMSTART
	v_dot2_f32_f16 v9, v74, v66, v9
	;;#ASMEND
	;;#ASMSTART
	v_dot2_f32_f16 v9, v75, v67, v9
	;;#ASMEND
	;;#ASMSTART
	v_dot2_f32_f16 v78, v72, v68, v78
	;;#ASMEND
	;;#ASMSTART
	v_dot2_f32_f16 v78, v73, v69, v78
	;;#ASMEND
	;;#ASMSTART
	v_dot2_f32_f16 v78, v74, v70, v78
	;;#ASMEND
	;;#ASMSTART
	v_dot2_f32_f16 v78, v75, v71, v78
	;;#ASMEND
	ds_load_b128 v[0:3], v50 offset:80
	ds_load_b128 v[56:59], v45 offset:336
	;; [unrolled: 1-line block ×6, first 2 shown]
	s_wait_dscnt 0x4
	;;#ASMSTART
	v_dot2_f32_f16 v6, v0, v56, v6
	;;#ASMEND
	;;#ASMSTART
	v_dot2_f32_f16 v6, v1, v57, v6
	;;#ASMEND
	;;#ASMSTART
	v_dot2_f32_f16 v6, v2, v58, v6
	;;#ASMEND
	;;#ASMSTART
	v_dot2_f32_f16 v6, v3, v59, v6
	;;#ASMEND
	s_wait_dscnt 0x3
	;;#ASMSTART
	v_dot2_f32_f16 v10, v0, v60, v10
	;;#ASMEND
	;;#ASMSTART
	v_dot2_f32_f16 v10, v1, v61, v10
	;;#ASMEND
	;;#ASMSTART
	v_dot2_f32_f16 v10, v2, v62, v10
	;;#ASMEND
	;;#ASMSTART
	v_dot2_f32_f16 v10, v3, v63, v10
	;;#ASMEND
	;; [unrolled: 13-line block ×5, first 2 shown]
	;;#ASMSTART
	v_dot2_f32_f16 v11, v72, v60, v11
	;;#ASMEND
	;;#ASMSTART
	v_dot2_f32_f16 v11, v73, v61, v11
	;;#ASMEND
	;; [unrolled: 3-line block ×12, first 2 shown]
	ds_load_b128 v[0:3], v50 offset:96
	ds_load_b128 v[56:59], v45 offset:352
	;; [unrolled: 1-line block ×6, first 2 shown]
	s_wait_dscnt 0x4
	;;#ASMSTART
	v_dot2_f32_f16 v6, v0, v56, v6
	;;#ASMEND
	;;#ASMSTART
	v_dot2_f32_f16 v6, v1, v57, v6
	;;#ASMEND
	;;#ASMSTART
	v_dot2_f32_f16 v6, v2, v58, v6
	;;#ASMEND
	;;#ASMSTART
	v_dot2_f32_f16 v6, v3, v59, v6
	;;#ASMEND
	s_wait_dscnt 0x3
	;;#ASMSTART
	v_dot2_f32_f16 v10, v0, v60, v10
	;;#ASMEND
	;;#ASMSTART
	v_dot2_f32_f16 v10, v1, v61, v10
	;;#ASMEND
	;;#ASMSTART
	v_dot2_f32_f16 v10, v2, v62, v10
	;;#ASMEND
	;;#ASMSTART
	v_dot2_f32_f16 v10, v3, v63, v10
	;;#ASMEND
	;; [unrolled: 13-line block ×5, first 2 shown]
	;;#ASMSTART
	v_dot2_f32_f16 v11, v72, v60, v11
	;;#ASMEND
	;;#ASMSTART
	v_dot2_f32_f16 v11, v73, v61, v11
	;;#ASMEND
	;;#ASMSTART
	v_dot2_f32_f16 v11, v74, v62, v11
	;;#ASMEND
	;;#ASMSTART
	v_dot2_f32_f16 v11, v75, v63, v11
	;;#ASMEND
	;;#ASMSTART
	v_dot2_f32_f16 v9, v72, v64, v9
	;;#ASMEND
	;;#ASMSTART
	v_dot2_f32_f16 v9, v73, v65, v9
	;;#ASMEND
	;;#ASMSTART
	v_dot2_f32_f16 v9, v74, v66, v9
	;;#ASMEND
	;;#ASMSTART
	v_dot2_f32_f16 v9, v75, v67, v9
	;;#ASMEND
	;;#ASMSTART
	v_dot2_f32_f16 v78, v72, v68, v78
	;;#ASMEND
	;;#ASMSTART
	v_dot2_f32_f16 v78, v73, v69, v78
	;;#ASMEND
	;;#ASMSTART
	v_dot2_f32_f16 v78, v74, v70, v78
	;;#ASMEND
	;;#ASMSTART
	v_dot2_f32_f16 v78, v75, v71, v78
	;;#ASMEND
	ds_load_b128 v[0:3], v50 offset:112
	ds_load_b128 v[56:59], v45 offset:368
	;; [unrolled: 1-line block ×6, first 2 shown]
	s_wait_dscnt 0x4
	;;#ASMSTART
	v_dot2_f32_f16 v6, v0, v56, v6
	;;#ASMEND
	;;#ASMSTART
	v_dot2_f32_f16 v6, v1, v57, v6
	;;#ASMEND
	;;#ASMSTART
	v_dot2_f32_f16 v6, v2, v58, v6
	;;#ASMEND
	;;#ASMSTART
	v_dot2_f32_f16 v6, v3, v59, v6
	;;#ASMEND
	s_wait_dscnt 0x3
	;;#ASMSTART
	v_dot2_f32_f16 v10, v0, v60, v10
	;;#ASMEND
	;;#ASMSTART
	v_dot2_f32_f16 v10, v1, v61, v10
	;;#ASMEND
	;;#ASMSTART
	v_dot2_f32_f16 v10, v2, v62, v10
	;;#ASMEND
	;;#ASMSTART
	v_dot2_f32_f16 v10, v3, v63, v10
	;;#ASMEND
	s_wait_dscnt 0x2
	;;#ASMSTART
	v_dot2_f32_f16 v8, v0, v64, v8
	;;#ASMEND
	;;#ASMSTART
	v_dot2_f32_f16 v8, v1, v65, v8
	;;#ASMEND
	;;#ASMSTART
	v_dot2_f32_f16 v8, v2, v66, v8
	;;#ASMEND
	;;#ASMSTART
	v_dot2_f32_f16 v8, v3, v67, v8
	;;#ASMEND
	s_wait_dscnt 0x1
	;;#ASMSTART
	v_dot2_f32_f16 v77, v0, v68, v77
	;;#ASMEND
	;;#ASMSTART
	v_dot2_f32_f16 v77, v1, v69, v77
	;;#ASMEND
	;;#ASMSTART
	v_dot2_f32_f16 v77, v2, v70, v77
	;;#ASMEND
	;;#ASMSTART
	v_dot2_f32_f16 v77, v3, v71, v77
	;;#ASMEND
	s_wait_dscnt 0x0
	;;#ASMSTART
	v_dot2_f32_f16 v7, v72, v56, v7
	;;#ASMEND
	;;#ASMSTART
	v_dot2_f32_f16 v7, v73, v57, v7
	;;#ASMEND
	;;#ASMSTART
	v_dot2_f32_f16 v7, v74, v58, v7
	;;#ASMEND
	;;#ASMSTART
	v_dot2_f32_f16 v7, v75, v59, v7
	;;#ASMEND
	;;#ASMSTART
	v_dot2_f32_f16 v11, v72, v60, v11
	;;#ASMEND
	;;#ASMSTART
	v_dot2_f32_f16 v11, v73, v61, v11
	;;#ASMEND
	;;#ASMSTART
	v_dot2_f32_f16 v11, v74, v62, v11
	;;#ASMEND
	;;#ASMSTART
	v_dot2_f32_f16 v11, v75, v63, v11
	;;#ASMEND
	;;#ASMSTART
	v_dot2_f32_f16 v9, v72, v64, v9
	;;#ASMEND
	v_cmp_ngt_f32_e64 s24, 0x3f200000, |v6|
	;;#ASMSTART
	v_dot2_f32_f16 v9, v73, v65, v9
	;;#ASMEND
	;;#ASMSTART
	v_dot2_f32_f16 v9, v74, v66, v9
	;;#ASMEND
	;; [unrolled: 3-line block ×7, first 2 shown]
                                        ; implicit-def: $vgpr2
	s_and_saveexec_b32 s25, s24
	s_delay_alu instid0(SALU_CYCLE_1)
	s_xor_b32 s24, exec_lo, s25
	s_cbranch_execz .LBB19_19
; %bb.18:                               ;   in Loop: Header=BB19_17 Depth=1
	v_add_f32_e64 v0, |v6|, |v6|
	s_delay_alu instid0(VALU_DEP_1) | instskip(SKIP_1) | instid1(VALU_DEP_2)
	v_mul_f32_e32 v1, 0x3fb8aa3b, v0
	v_cmp_ngt_f32_e32 vcc_lo, 0xc2ce8ed0, v0
	v_rndne_f32_e32 v2, v1
	v_fma_f32 v3, 0x3fb8aa3b, v0, -v1
	s_delay_alu instid0(VALU_DEP_2) | instskip(NEXT) | instid1(VALU_DEP_2)
	v_sub_f32_e32 v1, v1, v2
	v_fmac_f32_e32 v3, 0x32a5705f, v0
	v_cvt_i32_f32_e32 v2, v2
	s_delay_alu instid0(VALU_DEP_2) | instskip(NEXT) | instid1(VALU_DEP_1)
	v_add_f32_e32 v1, v1, v3
	v_exp_f32_e32 v1, v1
	v_nop
	s_delay_alu instid0(TRANS32_DEP_1) | instskip(NEXT) | instid1(VALU_DEP_1)
	v_ldexp_f32 v1, v1, v2
	v_cndmask_b32_e32 v1, 0, v1, vcc_lo
	v_cmp_nlt_f32_e32 vcc_lo, 0x42b17218, v0
	s_delay_alu instid0(VALU_DEP_2) | instskip(NEXT) | instid1(VALU_DEP_1)
	v_cndmask_b32_e32 v0, 0x7f800000, v1, vcc_lo
	v_add_f32_e32 v0, 1.0, v0
	s_delay_alu instid0(VALU_DEP_1) | instskip(SKIP_1) | instid1(TRANS32_DEP_1)
	v_rcp_f32_e32 v0, v0
	v_nop
	v_fma_f32 v2, v0, -2.0, 1.0
.LBB19_19:                              ;   in Loop: Header=BB19_17 Depth=1
	s_and_not1_saveexec_b32 s24, s24
	s_cbranch_execz .LBB19_21
; %bb.20:                               ;   in Loop: Header=BB19_17 Depth=1
	v_mul_f32_e32 v0, v6, v6
	s_delay_alu instid0(VALU_DEP_1) | instskip(NEXT) | instid1(VALU_DEP_1)
	v_fmaak_f32 v1, s3, v0, 0x3ca908c9
	v_fmaak_f32 v1, v0, v1, 0xbd5c1c4e
	s_delay_alu instid0(VALU_DEP_1) | instskip(NEXT) | instid1(VALU_DEP_1)
	v_fmaak_f32 v1, v0, v1, 0x3e088382
	v_fmaak_f32 v1, v0, v1, 0xbeaaaa99
	s_delay_alu instid0(VALU_DEP_1) | instskip(NEXT) | instid1(VALU_DEP_1)
	v_mul_f32_e64 v1, |v6|, v1
	v_fma_f32 v2, v0, v1, |v6|
.LBB19_21:                              ;   in Loop: Header=BB19_17 Depth=1
	s_or_b32 exec_lo, exec_lo, s24
	v_add_nc_u32_e32 v0, s4, v51
	v_cmp_ngt_f32_e64 s24, 0x3f200000, |v7|
                                        ; implicit-def: $vgpr3
	global_load_u16 v4, v0, s[30:31] scale_offset
	s_wait_xcnt 0x0
	s_and_saveexec_b32 s25, s24
	s_delay_alu instid0(SALU_CYCLE_1)
	s_xor_b32 s24, exec_lo, s25
	s_cbranch_execz .LBB19_23
; %bb.22:                               ;   in Loop: Header=BB19_17 Depth=1
	v_add_f32_e64 v1, |v7|, |v7|
	s_delay_alu instid0(VALU_DEP_1) | instskip(SKIP_1) | instid1(VALU_DEP_2)
	v_mul_f32_e32 v3, 0x3fb8aa3b, v1
	v_cmp_ngt_f32_e32 vcc_lo, 0xc2ce8ed0, v1
	v_rndne_f32_e32 v5, v3
	v_fma_f32 v55, 0x3fb8aa3b, v1, -v3
	s_delay_alu instid0(VALU_DEP_2) | instskip(NEXT) | instid1(VALU_DEP_2)
	v_sub_f32_e32 v3, v3, v5
	v_fmac_f32_e32 v55, 0x32a5705f, v1
	v_cvt_i32_f32_e32 v5, v5
	s_delay_alu instid0(VALU_DEP_2) | instskip(NEXT) | instid1(VALU_DEP_1)
	v_add_f32_e32 v3, v3, v55
	v_exp_f32_e32 v3, v3
	v_nop
	s_delay_alu instid0(TRANS32_DEP_1) | instskip(NEXT) | instid1(VALU_DEP_1)
	v_ldexp_f32 v3, v3, v5
	v_cndmask_b32_e32 v3, 0, v3, vcc_lo
	v_cmp_nlt_f32_e32 vcc_lo, 0x42b17218, v1
	s_delay_alu instid0(VALU_DEP_2) | instskip(NEXT) | instid1(VALU_DEP_1)
	v_cndmask_b32_e32 v1, 0x7f800000, v3, vcc_lo
	v_add_f32_e32 v1, 1.0, v1
	s_delay_alu instid0(VALU_DEP_1) | instskip(SKIP_1) | instid1(TRANS32_DEP_1)
	v_rcp_f32_e32 v1, v1
	v_nop
	v_fma_f32 v3, v1, -2.0, 1.0
.LBB19_23:                              ;   in Loop: Header=BB19_17 Depth=1
	s_and_not1_saveexec_b32 s24, s24
	s_cbranch_execz .LBB19_25
; %bb.24:                               ;   in Loop: Header=BB19_17 Depth=1
	v_mul_f32_e32 v1, v7, v7
	s_delay_alu instid0(VALU_DEP_1) | instskip(NEXT) | instid1(VALU_DEP_1)
	v_fmaak_f32 v3, s3, v1, 0x3ca908c9
	v_fmaak_f32 v3, v1, v3, 0xbd5c1c4e
	s_delay_alu instid0(VALU_DEP_1) | instskip(NEXT) | instid1(VALU_DEP_1)
	v_fmaak_f32 v3, v1, v3, 0x3e088382
	v_fmaak_f32 v3, v1, v3, 0xbeaaaa99
	s_delay_alu instid0(VALU_DEP_1) | instskip(NEXT) | instid1(VALU_DEP_1)
	v_mul_f32_e64 v3, |v7|, v3
	v_fma_f32 v3, v1, v3, |v7|
.LBB19_25:                              ;   in Loop: Header=BB19_17 Depth=1
	s_or_b32 exec_lo, exec_lo, s24
	v_dual_ashrrev_i32 v1, 31, v0 :: v_dual_bitop2_b32 v59, 16, v46 bitop3:0x14
	v_xor_b32_e32 v57, 4, v46
	v_xor_b32_e32 v55, 1, v46
	;; [unrolled: 1-line block ×3, first 2 shown]
	s_delay_alu instid0(VALU_DEP_4)
	v_lshl_add_u64 v[0:1], v[0:1], 1, s[30:31]
	v_cmp_gt_i32_e32 vcc_lo, 32, v59
	v_cmp_ngt_f32_e64 s24, 0x3f200000, |v10|
	v_xor_b32_e32 v58, 8, v46
	global_load_u16 v5, v[0:1], off offset:64
	s_wait_xcnt 0x0
	v_bfi_b32 v0, 0x7fffffff, v2, v6
	v_bfi_b32 v1, 0x7fffffff, v3, v7
                                        ; implicit-def: $vgpr6
	s_wait_loadcnt 0x1
	s_delay_alu instid0(VALU_DEP_2) | instskip(SKIP_2) | instid1(VALU_DEP_2)
	v_fma_mix_f32 v67, s26, v0, v4 op_sel_hi:[0,0,1]
	v_cndmask_b32_e32 v0, v46, v59, vcc_lo
	v_cmp_gt_i32_e32 vcc_lo, 32, v58
	v_dual_cndmask_b32 v3, v46, v58 :: v_dual_lshlrev_b32 v0, 2, v0
	v_cmp_gt_i32_e32 vcc_lo, 32, v57
	s_delay_alu instid0(VALU_DEP_2) | instskip(SKIP_1) | instid1(VALU_DEP_2)
	v_dual_cndmask_b32 v3, v46, v57 :: v_dual_lshlrev_b32 v66, 2, v3
	v_cmp_gt_i32_e32 vcc_lo, 32, v56
	v_dual_lshlrev_b32 v63, 2, v3 :: v_dual_cndmask_b32 v3, v46, v56, vcc_lo
	v_cmp_gt_i32_e32 vcc_lo, 32, v55
	s_delay_alu instid0(VALU_DEP_2) | instskip(SKIP_1) | instid1(VALU_DEP_1)
	v_lshlrev_b32_e32 v62, 2, v3
	v_cndmask_b32_e32 v3, v46, v55, vcc_lo
	v_lshlrev_b32_e32 v3, 2, v3
	s_wait_loadcnt 0x0
	v_fma_mix_f32 v68, s26, v1, v5 op_sel_hi:[0,0,1]
	s_delay_alu instid0(VALU_DEP_1) | instskip(NEXT) | instid1(VALU_DEP_1)
	v_dual_add_f32 v1, 0x40051340, v67 :: v_dual_add_f32 v2, 0x40051340, v68
	v_max3_num_f32 v1, v21, v1, v2
	ds_bpermute_b32 v2, v0, v1
	s_wait_dscnt 0x0
	v_max_num_f32_e32 v2, v2, v2
	s_delay_alu instid0(VALU_DEP_1) | instskip(SKIP_3) | instid1(VALU_DEP_1)
	v_max_num_f32_e32 v1, v1, v2
	ds_bpermute_b32 v2, v66, v1
	s_wait_dscnt 0x0
	v_max_num_f32_e32 v2, v2, v2
	v_max_num_f32_e32 v1, v1, v2
	ds_bpermute_b32 v2, v63, v1
	s_wait_dscnt 0x0
	v_max_num_f32_e32 v2, v2, v2
	s_delay_alu instid0(VALU_DEP_1) | instskip(SKIP_3) | instid1(VALU_DEP_1)
	v_max_num_f32_e32 v1, v1, v2
	ds_bpermute_b32 v2, v62, v1
	s_wait_dscnt 0x0
	v_max_num_f32_e32 v2, v2, v2
	v_max_num_f32_e32 v1, v1, v2
	ds_bpermute_b32 v2, v3, v1
	s_and_saveexec_b32 s25, s24
	s_delay_alu instid0(SALU_CYCLE_1)
	s_xor_b32 s24, exec_lo, s25
	s_cbranch_execz .LBB19_27
; %bb.26:                               ;   in Loop: Header=BB19_17 Depth=1
	v_add_f32_e64 v6, |v10|, |v10|
	s_delay_alu instid0(VALU_DEP_1) | instskip(SKIP_1) | instid1(VALU_DEP_2)
	v_mul_f32_e32 v7, 0x3fb8aa3b, v6
	v_cmp_ngt_f32_e32 vcc_lo, 0xc2ce8ed0, v6
	v_rndne_f32_e32 v60, v7
	v_fma_f32 v61, 0x3fb8aa3b, v6, -v7
	s_delay_alu instid0(VALU_DEP_2) | instskip(NEXT) | instid1(VALU_DEP_2)
	v_sub_f32_e32 v7, v7, v60
	v_fmac_f32_e32 v61, 0x32a5705f, v6
	v_cvt_i32_f32_e32 v60, v60
	s_delay_alu instid0(VALU_DEP_2) | instskip(NEXT) | instid1(VALU_DEP_1)
	v_add_f32_e32 v7, v7, v61
	v_exp_f32_e32 v7, v7
	v_nop
	s_delay_alu instid0(TRANS32_DEP_1) | instskip(NEXT) | instid1(VALU_DEP_1)
	v_ldexp_f32 v7, v7, v60
	v_cndmask_b32_e32 v7, 0, v7, vcc_lo
	v_cmp_nlt_f32_e32 vcc_lo, 0x42b17218, v6
	s_delay_alu instid0(VALU_DEP_2) | instskip(NEXT) | instid1(VALU_DEP_1)
	v_cndmask_b32_e32 v6, 0x7f800000, v7, vcc_lo
	v_add_f32_e32 v6, 1.0, v6
	s_delay_alu instid0(VALU_DEP_1) | instskip(SKIP_1) | instid1(TRANS32_DEP_1)
	v_rcp_f32_e32 v6, v6
	v_nop
	v_fma_f32 v6, v6, -2.0, 1.0
.LBB19_27:                              ;   in Loop: Header=BB19_17 Depth=1
	s_and_not1_saveexec_b32 s24, s24
	s_cbranch_execz .LBB19_29
; %bb.28:                               ;   in Loop: Header=BB19_17 Depth=1
	v_mul_f32_e32 v6, v10, v10
	s_delay_alu instid0(VALU_DEP_1) | instskip(NEXT) | instid1(VALU_DEP_1)
	v_fmaak_f32 v7, s3, v6, 0x3ca908c9
	v_fmaak_f32 v7, v6, v7, 0xbd5c1c4e
	s_delay_alu instid0(VALU_DEP_1) | instskip(NEXT) | instid1(VALU_DEP_1)
	v_fmaak_f32 v7, v6, v7, 0x3e088382
	v_fmaak_f32 v7, v6, v7, 0xbeaaaa99
	s_delay_alu instid0(VALU_DEP_1) | instskip(NEXT) | instid1(VALU_DEP_1)
	v_mul_f32_e64 v7, |v10|, v7
	v_fma_f32 v6, v6, v7, |v10|
.LBB19_29:                              ;   in Loop: Header=BB19_17 Depth=1
	s_or_b32 exec_lo, exec_lo, s24
	v_cmp_ngt_f32_e64 s24, 0x3f200000, |v11|
                                        ; implicit-def: $vgpr7
	s_and_saveexec_b32 s25, s24
	s_delay_alu instid0(SALU_CYCLE_1)
	s_xor_b32 s24, exec_lo, s25
	s_cbranch_execz .LBB19_31
; %bb.30:                               ;   in Loop: Header=BB19_17 Depth=1
	v_add_f32_e64 v7, |v11|, |v11|
	s_delay_alu instid0(VALU_DEP_1) | instskip(SKIP_1) | instid1(VALU_DEP_2)
	v_mul_f32_e32 v60, 0x3fb8aa3b, v7
	v_cmp_ngt_f32_e32 vcc_lo, 0xc2ce8ed0, v7
	v_rndne_f32_e32 v61, v60
	v_fma_f32 v64, 0x3fb8aa3b, v7, -v60
	s_delay_alu instid0(VALU_DEP_2) | instskip(NEXT) | instid1(VALU_DEP_2)
	v_sub_f32_e32 v60, v60, v61
	v_fmac_f32_e32 v64, 0x32a5705f, v7
	v_cvt_i32_f32_e32 v61, v61
	s_delay_alu instid0(VALU_DEP_2) | instskip(NEXT) | instid1(VALU_DEP_1)
	v_add_f32_e32 v60, v60, v64
	v_exp_f32_e32 v60, v60
	v_nop
	s_delay_alu instid0(TRANS32_DEP_1) | instskip(NEXT) | instid1(VALU_DEP_1)
	v_ldexp_f32 v60, v60, v61
	v_cndmask_b32_e32 v60, 0, v60, vcc_lo
	v_cmp_nlt_f32_e32 vcc_lo, 0x42b17218, v7
	s_delay_alu instid0(VALU_DEP_2) | instskip(NEXT) | instid1(VALU_DEP_1)
	v_cndmask_b32_e32 v7, 0x7f800000, v60, vcc_lo
	v_add_f32_e32 v7, 1.0, v7
	s_delay_alu instid0(VALU_DEP_1) | instskip(SKIP_1) | instid1(TRANS32_DEP_1)
	v_rcp_f32_e32 v7, v7
	v_nop
	v_fma_f32 v7, v7, -2.0, 1.0
.LBB19_31:                              ;   in Loop: Header=BB19_17 Depth=1
	s_and_not1_saveexec_b32 s24, s24
	s_cbranch_execz .LBB19_33
; %bb.32:                               ;   in Loop: Header=BB19_17 Depth=1
	v_mul_f32_e32 v7, v11, v11
	s_delay_alu instid0(VALU_DEP_1) | instskip(NEXT) | instid1(VALU_DEP_1)
	v_fmaak_f32 v60, s3, v7, 0x3ca908c9
	v_fmaak_f32 v60, v7, v60, 0xbd5c1c4e
	s_delay_alu instid0(VALU_DEP_1) | instskip(NEXT) | instid1(VALU_DEP_1)
	v_fmaak_f32 v60, v7, v60, 0x3e088382
	v_fmaak_f32 v60, v7, v60, 0xbeaaaa99
	s_delay_alu instid0(VALU_DEP_1) | instskip(NEXT) | instid1(VALU_DEP_1)
	v_mul_f32_e64 v60, |v11|, v60
	v_fma_f32 v7, v7, v60, |v11|
.LBB19_33:                              ;   in Loop: Header=BB19_17 Depth=1
	s_or_b32 exec_lo, exec_lo, s24
	v_cvt_f32_f16_e32 v65, v4
	v_cvt_f32_f16_e32 v64, v5
	v_bfi_b32 v4, 0x7fffffff, v6, v10
	v_bfi_b32 v5, 0x7fffffff, v7, v11
	v_cmp_ngt_f32_e64 s24, 0x3f200000, |v8|
	s_delay_alu instid0(VALU_DEP_2) | instskip(NEXT) | instid1(VALU_DEP_1)
	v_dual_fma_f32 v69, s26, v4, v65 :: v_dual_fma_f32 v70, s26, v5, v64
	v_dual_add_f32 v4, 0x40051340, v69 :: v_dual_add_f32 v5, 0x40051340, v70
	s_delay_alu instid0(VALU_DEP_1) | instskip(SKIP_3) | instid1(VALU_DEP_1)
	v_max3_num_f32 v4, v23, v4, v5
	ds_bpermute_b32 v5, v0, v4
	s_wait_dscnt 0x0
	v_max_num_f32_e32 v5, v5, v5
	v_max_num_f32_e32 v4, v4, v5
	ds_bpermute_b32 v5, v66, v4
	s_wait_dscnt 0x0
	v_max_num_f32_e32 v5, v5, v5
	s_delay_alu instid0(VALU_DEP_1) | instskip(SKIP_3) | instid1(VALU_DEP_1)
	v_max_num_f32_e32 v4, v4, v5
	ds_bpermute_b32 v5, v63, v4
	s_wait_dscnt 0x0
	v_max_num_f32_e32 v5, v5, v5
	v_max_num_f32_e32 v4, v4, v5
	ds_bpermute_b32 v5, v62, v4
	s_wait_dscnt 0x0
	v_max_num_f32_e32 v5, v5, v5
	s_delay_alu instid0(VALU_DEP_1) | instskip(SKIP_2) | instid1(SALU_CYCLE_1)
	v_max_num_f32_e32 v60, v4, v5
                                        ; implicit-def: $vgpr4
	ds_bpermute_b32 v61, v3, v60
	s_and_saveexec_b32 s25, s24
	s_xor_b32 s24, exec_lo, s25
	s_cbranch_execz .LBB19_35
; %bb.34:                               ;   in Loop: Header=BB19_17 Depth=1
	v_add_f32_e64 v4, |v8|, |v8|
	s_delay_alu instid0(VALU_DEP_1) | instskip(SKIP_1) | instid1(VALU_DEP_2)
	v_mul_f32_e32 v5, 0x3fb8aa3b, v4
	v_cmp_ngt_f32_e32 vcc_lo, 0xc2ce8ed0, v4
	v_rndne_f32_e32 v6, v5
	v_fma_f32 v7, 0x3fb8aa3b, v4, -v5
	s_delay_alu instid0(VALU_DEP_2) | instskip(NEXT) | instid1(VALU_DEP_2)
	v_sub_f32_e32 v5, v5, v6
	v_fmac_f32_e32 v7, 0x32a5705f, v4
	v_cvt_i32_f32_e32 v6, v6
	s_delay_alu instid0(VALU_DEP_2) | instskip(NEXT) | instid1(VALU_DEP_1)
	v_add_f32_e32 v5, v5, v7
	v_exp_f32_e32 v5, v5
	v_nop
	s_delay_alu instid0(TRANS32_DEP_1) | instskip(NEXT) | instid1(VALU_DEP_1)
	v_ldexp_f32 v5, v5, v6
	v_cndmask_b32_e32 v5, 0, v5, vcc_lo
	v_cmp_nlt_f32_e32 vcc_lo, 0x42b17218, v4
	s_delay_alu instid0(VALU_DEP_2) | instskip(NEXT) | instid1(VALU_DEP_1)
	v_cndmask_b32_e32 v4, 0x7f800000, v5, vcc_lo
	v_add_f32_e32 v4, 1.0, v4
	s_delay_alu instid0(VALU_DEP_1) | instskip(SKIP_1) | instid1(TRANS32_DEP_1)
	v_rcp_f32_e32 v4, v4
	v_nop
	v_fma_f32 v4, v4, -2.0, 1.0
.LBB19_35:                              ;   in Loop: Header=BB19_17 Depth=1
	s_and_not1_saveexec_b32 s24, s24
	s_cbranch_execz .LBB19_37
; %bb.36:                               ;   in Loop: Header=BB19_17 Depth=1
	v_mul_f32_e32 v4, v8, v8
	s_delay_alu instid0(VALU_DEP_1) | instskip(NEXT) | instid1(VALU_DEP_1)
	v_fmaak_f32 v5, s3, v4, 0x3ca908c9
	v_fmaak_f32 v5, v4, v5, 0xbd5c1c4e
	s_delay_alu instid0(VALU_DEP_1) | instskip(NEXT) | instid1(VALU_DEP_1)
	v_fmaak_f32 v5, v4, v5, 0x3e088382
	v_fmaak_f32 v5, v4, v5, 0xbeaaaa99
	s_delay_alu instid0(VALU_DEP_1) | instskip(NEXT) | instid1(VALU_DEP_1)
	v_mul_f32_e64 v5, |v8|, v5
	v_fma_f32 v4, v4, v5, |v8|
.LBB19_37:                              ;   in Loop: Header=BB19_17 Depth=1
	s_or_b32 exec_lo, exec_lo, s24
	v_cmp_ngt_f32_e64 s24, 0x3f200000, |v9|
                                        ; implicit-def: $vgpr5
	s_and_saveexec_b32 s25, s24
	s_delay_alu instid0(SALU_CYCLE_1)
	s_xor_b32 s24, exec_lo, s25
	s_cbranch_execz .LBB19_39
; %bb.38:                               ;   in Loop: Header=BB19_17 Depth=1
	v_add_f32_e64 v5, |v9|, |v9|
	s_delay_alu instid0(VALU_DEP_1) | instskip(SKIP_1) | instid1(VALU_DEP_2)
	v_mul_f32_e32 v6, 0x3fb8aa3b, v5
	v_cmp_ngt_f32_e32 vcc_lo, 0xc2ce8ed0, v5
	v_rndne_f32_e32 v7, v6
	v_fma_f32 v10, 0x3fb8aa3b, v5, -v6
	s_delay_alu instid0(VALU_DEP_2) | instskip(NEXT) | instid1(VALU_DEP_2)
	v_sub_f32_e32 v6, v6, v7
	v_fmac_f32_e32 v10, 0x32a5705f, v5
	v_cvt_i32_f32_e32 v7, v7
	s_delay_alu instid0(VALU_DEP_2) | instskip(NEXT) | instid1(VALU_DEP_1)
	v_add_f32_e32 v6, v6, v10
	v_exp_f32_e32 v6, v6
	v_nop
	s_delay_alu instid0(TRANS32_DEP_1) | instskip(NEXT) | instid1(VALU_DEP_1)
	v_ldexp_f32 v6, v6, v7
	v_cndmask_b32_e32 v6, 0, v6, vcc_lo
	v_cmp_nlt_f32_e32 vcc_lo, 0x42b17218, v5
	s_delay_alu instid0(VALU_DEP_2) | instskip(NEXT) | instid1(VALU_DEP_1)
	v_cndmask_b32_e32 v5, 0x7f800000, v6, vcc_lo
	v_add_f32_e32 v5, 1.0, v5
	s_delay_alu instid0(VALU_DEP_1) | instskip(SKIP_1) | instid1(TRANS32_DEP_1)
	v_rcp_f32_e32 v5, v5
	v_nop
	v_fma_f32 v5, v5, -2.0, 1.0
.LBB19_39:                              ;   in Loop: Header=BB19_17 Depth=1
	s_and_not1_saveexec_b32 s24, s24
	s_cbranch_execz .LBB19_41
; %bb.40:                               ;   in Loop: Header=BB19_17 Depth=1
	v_mul_f32_e32 v5, v9, v9
	s_delay_alu instid0(VALU_DEP_1) | instskip(NEXT) | instid1(VALU_DEP_1)
	v_fmaak_f32 v6, s3, v5, 0x3ca908c9
	v_fmaak_f32 v6, v5, v6, 0xbd5c1c4e
	s_delay_alu instid0(VALU_DEP_1) | instskip(NEXT) | instid1(VALU_DEP_1)
	v_fmaak_f32 v6, v5, v6, 0x3e088382
	v_fmaak_f32 v6, v5, v6, 0xbeaaaa99
	s_delay_alu instid0(VALU_DEP_1) | instskip(NEXT) | instid1(VALU_DEP_1)
	v_mul_f32_e64 v6, |v9|, v6
	v_fma_f32 v5, v5, v6, |v9|
.LBB19_41:                              ;   in Loop: Header=BB19_17 Depth=1
	s_or_b32 exec_lo, exec_lo, s24
	v_bfi_b32 v4, 0x7fffffff, v4, v8
	s_delay_alu instid0(VALU_DEP_2) | instskip(SKIP_1) | instid1(VALU_DEP_2)
	v_bfi_b32 v5, 0x7fffffff, v5, v9
	v_cmp_ngt_f32_e64 s24, 0x3f200000, |v77|
                                        ; implicit-def: $vgpr75
	v_dual_fma_f32 v71, s26, v4, v65 :: v_dual_fma_f32 v72, s26, v5, v64
	s_delay_alu instid0(VALU_DEP_1) | instskip(NEXT) | instid1(VALU_DEP_1)
	v_dual_add_f32 v4, 0x40051340, v71 :: v_dual_add_f32 v5, 0x40051340, v72
	v_max3_num_f32 v4, v22, v4, v5
	ds_bpermute_b32 v5, v0, v4
	s_wait_dscnt 0x0
	v_max_num_f32_e32 v5, v5, v5
	s_delay_alu instid0(VALU_DEP_1) | instskip(SKIP_3) | instid1(VALU_DEP_1)
	v_max_num_f32_e32 v4, v4, v5
	ds_bpermute_b32 v5, v66, v4
	s_wait_dscnt 0x0
	v_max_num_f32_e32 v5, v5, v5
	v_max_num_f32_e32 v4, v4, v5
	ds_bpermute_b32 v5, v63, v4
	s_wait_dscnt 0x0
	v_max_num_f32_e32 v5, v5, v5
	s_delay_alu instid0(VALU_DEP_1) | instskip(SKIP_3) | instid1(VALU_DEP_1)
	v_max_num_f32_e32 v4, v4, v5
	ds_bpermute_b32 v5, v62, v4
	s_wait_dscnt 0x0
	v_max_num_f32_e32 v5, v5, v5
	v_max_num_f32_e32 v73, v4, v5
	ds_bpermute_b32 v74, v3, v73
	s_and_saveexec_b32 s25, s24
	s_delay_alu instid0(SALU_CYCLE_1)
	s_xor_b32 s24, exec_lo, s25
	s_cbranch_execz .LBB19_43
; %bb.42:                               ;   in Loop: Header=BB19_17 Depth=1
	v_add_f32_e64 v4, |v77|, |v77|
	s_delay_alu instid0(VALU_DEP_1) | instskip(SKIP_1) | instid1(VALU_DEP_2)
	v_mul_f32_e32 v5, 0x3fb8aa3b, v4
	v_cmp_ngt_f32_e32 vcc_lo, 0xc2ce8ed0, v4
	v_rndne_f32_e32 v6, v5
	v_fma_f32 v7, 0x3fb8aa3b, v4, -v5
	s_delay_alu instid0(VALU_DEP_2) | instskip(NEXT) | instid1(VALU_DEP_2)
	v_sub_f32_e32 v5, v5, v6
	v_fmac_f32_e32 v7, 0x32a5705f, v4
	v_cvt_i32_f32_e32 v6, v6
	s_delay_alu instid0(VALU_DEP_2) | instskip(NEXT) | instid1(VALU_DEP_1)
	v_add_f32_e32 v5, v5, v7
	v_exp_f32_e32 v5, v5
	v_nop
	s_delay_alu instid0(TRANS32_DEP_1) | instskip(NEXT) | instid1(VALU_DEP_1)
	v_ldexp_f32 v5, v5, v6
	v_cndmask_b32_e32 v5, 0, v5, vcc_lo
	v_cmp_nlt_f32_e32 vcc_lo, 0x42b17218, v4
	s_delay_alu instid0(VALU_DEP_2) | instskip(NEXT) | instid1(VALU_DEP_1)
	v_cndmask_b32_e32 v4, 0x7f800000, v5, vcc_lo
	v_add_f32_e32 v4, 1.0, v4
	s_delay_alu instid0(VALU_DEP_1) | instskip(SKIP_1) | instid1(TRANS32_DEP_1)
	v_rcp_f32_e32 v4, v4
	v_nop
	v_fma_f32 v75, v4, -2.0, 1.0
.LBB19_43:                              ;   in Loop: Header=BB19_17 Depth=1
	s_and_not1_saveexec_b32 s24, s24
	s_cbranch_execz .LBB19_45
; %bb.44:                               ;   in Loop: Header=BB19_17 Depth=1
	v_mul_f32_e32 v4, v77, v77
	s_delay_alu instid0(VALU_DEP_1) | instskip(NEXT) | instid1(VALU_DEP_1)
	v_fmaak_f32 v5, s3, v4, 0x3ca908c9
	v_fmaak_f32 v5, v4, v5, 0xbd5c1c4e
	s_delay_alu instid0(VALU_DEP_1) | instskip(NEXT) | instid1(VALU_DEP_1)
	v_fmaak_f32 v5, v4, v5, 0x3e088382
	v_fmaak_f32 v5, v4, v5, 0xbeaaaa99
	s_delay_alu instid0(VALU_DEP_1) | instskip(NEXT) | instid1(VALU_DEP_1)
	v_mul_f32_e64 v5, |v77|, v5
	v_fma_f32 v75, v4, v5, |v77|
.LBB19_45:                              ;   in Loop: Header=BB19_17 Depth=1
	s_or_b32 exec_lo, exec_lo, s24
	v_cmp_ngt_f32_e64 s24, 0x3f200000, |v78|
                                        ; implicit-def: $vgpr76
	s_and_saveexec_b32 s25, s24
	s_delay_alu instid0(SALU_CYCLE_1)
	s_xor_b32 s24, exec_lo, s25
	s_cbranch_execz .LBB19_47
; %bb.46:                               ;   in Loop: Header=BB19_17 Depth=1
	v_add_f32_e64 v4, |v78|, |v78|
	s_delay_alu instid0(VALU_DEP_1) | instskip(SKIP_1) | instid1(VALU_DEP_2)
	v_mul_f32_e32 v5, 0x3fb8aa3b, v4
	v_cmp_ngt_f32_e32 vcc_lo, 0xc2ce8ed0, v4
	v_rndne_f32_e32 v6, v5
	v_fma_f32 v7, 0x3fb8aa3b, v4, -v5
	s_delay_alu instid0(VALU_DEP_2) | instskip(NEXT) | instid1(VALU_DEP_2)
	v_sub_f32_e32 v5, v5, v6
	v_fmac_f32_e32 v7, 0x32a5705f, v4
	v_cvt_i32_f32_e32 v6, v6
	s_delay_alu instid0(VALU_DEP_2) | instskip(NEXT) | instid1(VALU_DEP_1)
	v_add_f32_e32 v5, v5, v7
	v_exp_f32_e32 v5, v5
	v_nop
	s_delay_alu instid0(TRANS32_DEP_1) | instskip(NEXT) | instid1(VALU_DEP_1)
	v_ldexp_f32 v5, v5, v6
	v_cndmask_b32_e32 v5, 0, v5, vcc_lo
	v_cmp_nlt_f32_e32 vcc_lo, 0x42b17218, v4
	s_delay_alu instid0(VALU_DEP_2) | instskip(NEXT) | instid1(VALU_DEP_1)
	v_cndmask_b32_e32 v4, 0x7f800000, v5, vcc_lo
	v_add_f32_e32 v4, 1.0, v4
	s_delay_alu instid0(VALU_DEP_1) | instskip(SKIP_1) | instid1(TRANS32_DEP_1)
	v_rcp_f32_e32 v4, v4
	v_nop
	v_fma_f32 v76, v4, -2.0, 1.0
.LBB19_47:                              ;   in Loop: Header=BB19_17 Depth=1
	s_and_not1_saveexec_b32 s24, s24
	s_cbranch_execz .LBB19_49
; %bb.48:                               ;   in Loop: Header=BB19_17 Depth=1
	v_mul_f32_e32 v4, v78, v78
	s_delay_alu instid0(VALU_DEP_1) | instskip(NEXT) | instid1(VALU_DEP_1)
	v_fmaak_f32 v5, s3, v4, 0x3ca908c9
	v_fmaak_f32 v5, v4, v5, 0xbd5c1c4e
	s_delay_alu instid0(VALU_DEP_1) | instskip(NEXT) | instid1(VALU_DEP_1)
	v_fmaak_f32 v5, v4, v5, 0x3e088382
	v_fmaak_f32 v5, v4, v5, 0xbeaaaa99
	s_delay_alu instid0(VALU_DEP_1) | instskip(NEXT) | instid1(VALU_DEP_1)
	v_mul_f32_e64 v5, |v78|, v5
	v_fma_f32 v76, v4, v5, |v78|
.LBB19_49:                              ;   in Loop: Header=BB19_17 Depth=1
	s_or_b32 exec_lo, exec_lo, s24
	s_mul_u64 s[24:25], s[4:5], s[10:11]
	s_wait_dscnt 0x0
	s_lshl_b64 s[24:25], s[24:25], 2
	s_barrier_signal -1
	s_add_nc_u64 s[24:25], s[8:9], s[24:25]
	s_barrier_wait -1
	v_add_nc_u64_e32 v[4:5], s[24:25], v[38:39]
	v_add_nc_u64_e32 v[6:7], s[24:25], v[40:41]
	v_bfi_b32 v75, 0x7fffffff, v75, v77
	v_bfi_b32 v76, 0x7fffffff, v76, v78
	v_dual_max_num_f32 v74, v74, v74 :: v_dual_max_num_f32 v1, v1, v1
	v_add_nc_u64_e32 v[80:81], v[4:5], v[32:33]
	v_add_nc_u64_e32 v[82:83], v[6:7], v[32:33]
	s_delay_alu instid0(VALU_DEP_4)
	v_dual_fmac_f32 v65, s26, v75 :: v_dual_fmac_f32 v64, s26, v76
	s_or_b32 s24, s4, 32
	s_clause 0x1
	global_load_b128 v[4:7], v[80:81], off
	global_load_b128 v[8:11], v[82:83], off
	v_dual_add_f32 v75, 0x40051340, v65 :: v_dual_add_f32 v76, 0x40051340, v64
	v_max_num_f32_e32 v77, v60, v60
	s_ashr_i32 s25, s24, 31
	s_delay_alu instid0(SALU_CYCLE_1) | instskip(NEXT) | instid1(VALU_DEP_2)
	s_mul_u64 s[24:25], s[24:25], s[10:11]
	v_max3_num_f32 v75, v20, v75, v76
	s_lshl_b64 s[24:25], s[24:25], 2
	s_delay_alu instid0(SALU_CYCLE_1) | instskip(SKIP_3) | instid1(VALU_DEP_2)
	s_add_nc_u64 s[24:25], s[8:9], s[24:25]
	ds_bpermute_b32 v76, v0, v75
	v_dual_max_num_f32 v0, v2, v2 :: v_dual_max_num_f32 v2, v73, v73
	v_dual_max_num_f32 v73, v61, v61 :: v_dual_add_nc_u32 v78, v52, v44
	v_dual_max_num_f32 v0, v1, v0 :: v_dual_max_num_f32 v2, v2, v74
	s_delay_alu instid0(VALU_DEP_2) | instskip(SKIP_2) | instid1(VALU_DEP_4)
	v_max_num_f32_e32 v1, v77, v73
	v_add_nc_u32_e32 v61, 0x3000, v44
	v_add_nc_u32_e32 v60, 0x3800, v44
	v_dual_sub_f32 v68, v68, v0 :: v_dual_sub_f32 v74, v22, v2
	s_delay_alu instid0(VALU_DEP_4) | instskip(SKIP_4) | instid1(VALU_DEP_3)
	v_dual_sub_f32 v73, v23, v1 :: v_dual_sub_f32 v23, v69, v1
	v_dual_sub_f32 v69, v70, v1 :: v_dual_sub_f32 v21, v21, v0
	v_sub_f32_e32 v67, v67, v0
	v_dual_sub_f32 v70, v71, v2 :: v_dual_sub_f32 v71, v72, v2
	s_wait_dscnt 0x0
	v_dual_max_num_f32 v22, v76, v76 :: v_dual_mul_f32 v79, 0x3fb8aa3b, v69
	s_delay_alu instid0(VALU_DEP_3) | instskip(SKIP_1) | instid1(VALU_DEP_3)
	v_mul_f32_e32 v72, 0x3fb8aa3b, v67
	v_dual_mul_f32 v76, 0x3fb8aa3b, v68 :: v_dual_mul_f32 v77, 0x3fb8aa3b, v23
	v_dual_max_num_f32 v22, v75, v22 :: v_dual_mul_f32 v75, 0x3fb8aa3b, v21
	s_delay_alu instid0(VALU_DEP_3) | instskip(SKIP_1) | instid1(VALU_DEP_4)
	v_rndne_f32_e32 v85, v72
	v_fma_f32 v84, 0x3fb8aa3b, v67, -v72
	v_rndne_f32_e32 v87, v76
	ds_bpermute_b32 v66, v66, v22
	s_wait_xcnt 0x1
	v_dual_mul_f32 v80, 0x3fb8aa3b, v73 :: v_dual_mul_f32 v81, 0x3fb8aa3b, v70
	v_fma_f32 v88, 0x3fb8aa3b, v21, -v75
	v_rndne_f32_e32 v89, v75
	s_wait_xcnt 0x0
	v_dual_mul_f32 v82, 0x3fb8aa3b, v71 :: v_dual_mul_f32 v83, 0x3fb8aa3b, v74
	v_fma_f32 v86, 0x3fb8aa3b, v68, -v76
	v_sub_f32_e32 v72, v72, v85
	v_fma_f32 v90, 0x3fb8aa3b, v23, -v77
	v_rndne_f32_e32 v91, v77
	v_fma_f32 v92, 0x3fb8aa3b, v69, -v79
	v_rndne_f32_e32 v93, v79
	v_fma_f32 v94, 0x3fb8aa3b, v73, -v80
	v_rndne_f32_e32 v95, v80
	v_rndne_f32_e32 v97, v81
	v_dual_fmac_f32 v84, 0x32a5705f, v67 :: v_dual_sub_f32 v75, v75, v89
	v_fma_f32 v96, 0x3fb8aa3b, v70, -v81
	v_fma_f32 v98, 0x3fb8aa3b, v71, -v82
	s_wait_dscnt 0x0
	v_max_num_f32_e32 v66, v66, v66
	v_dual_fmac_f32 v86, 0x32a5705f, v68 :: v_dual_sub_f32 v77, v77, v91
	v_dual_fmac_f32 v90, 0x32a5705f, v23 :: v_dual_sub_f32 v79, v79, v93
	s_delay_alu instid0(VALU_DEP_3)
	v_dual_max_num_f32 v22, v22, v66 :: v_dual_sub_f32 v66, v76, v87
	v_fmac_f32_e32 v94, 0x32a5705f, v73
	v_dual_sub_f32 v80, v80, v95 :: v_dual_sub_f32 v81, v81, v97
	ds_bpermute_b32 v63, v63, v22
	v_fmac_f32_e32 v88, 0x32a5705f, v21
	v_fmac_f32_e32 v92, 0x32a5705f, v69
	v_rndne_f32_e32 v99, v82
	v_fma_f32 v100, 0x3fb8aa3b, v74, -v83
	v_rndne_f32_e32 v101, v83
	v_cvt_i32_f32_e32 v76, v85
	v_cvt_i32_f32_e32 v85, v87
	;; [unrolled: 1-line block ×3, first 2 shown]
	v_dual_sub_f32 v82, v82, v99 :: v_dual_add_f32 v72, v72, v84
	v_dual_fmac_f32 v96, 0x32a5705f, v70 :: v_dual_sub_f32 v83, v83, v101
	v_add_f32_e32 v66, v66, v86
	v_cmp_ngt_f32_e32 vcc_lo, 0xc2ce8ed0, v67
	s_delay_alu instid0(VALU_DEP_4)
	v_exp_f32_e32 v72, v72
	v_cvt_i32_f32_e32 v89, v91
	v_cvt_i32_f32_e32 v91, v93
	v_cvt_i32_f32_e32 v93, v95
	v_cvt_i32_f32_e32 v95, v97
	s_wait_dscnt 0x0
	v_max_num_f32_e32 v63, v63, v63
	v_cvt_i32_f32_e32 v97, v99
	v_ldexp_f32 v72, v72, v76
	v_cvt_i32_f32_e32 v99, v101
	s_delay_alu instid0(VALU_DEP_4)
	v_dual_max_num_f32 v22, v22, v63 :: v_dual_add_f32 v63, v75, v88
	v_dual_fmac_f32 v98, 0x32a5705f, v71 :: v_dual_add_f32 v75, v77, v90
	v_dual_add_f32 v77, v79, v92 :: v_dual_add_f32 v79, v80, v94
	ds_bpermute_b32 v62, v62, v22
	v_exp_f32_e32 v63, v63
	v_add_f32_e32 v80, v81, v96
	v_exp_f32_e32 v66, v66
	v_exp_f32_e32 v75, v75
	;; [unrolled: 1-line block ×5, first 2 shown]
	v_ldexp_f32 v63, v63, v87
	v_fmac_f32_e32 v100, 0x32a5705f, v74
	v_add_f32_e32 v81, v82, v98
	v_ldexp_f32 v66, v66, v85
	v_cndmask_b32_e32 v72, 0, v72, vcc_lo
	v_cmp_ngt_f32_e32 vcc_lo, 0xc2ce8ed0, v68
	v_add_f32_e32 v82, v83, v100
	v_exp_f32_e32 v81, v81
	v_ldexp_f32 v75, v75, v89
	v_ldexp_f32 v76, v77, v91
	;; [unrolled: 1-line block ×3, first 2 shown]
	v_exp_f32_e32 v82, v82
	s_wait_dscnt 0x0
	v_max_num_f32_e32 v62, v62, v62
	v_ldexp_f32 v79, v80, v95
	v_ldexp_f32 v80, v81, v97
	s_delay_alu instid0(TRANS32_DEP_1) | instskip(NEXT) | instid1(VALU_DEP_4)
	v_ldexp_f32 v81, v82, v99
	v_max_num_f32_e32 v82, v22, v62
	v_cndmask_b32_e32 v62, 0, v66, vcc_lo
	v_cmp_ngt_f32_e32 vcc_lo, 0xc2ce8ed0, v21
	v_cndmask_b32_e32 v63, 0, v63, vcc_lo
	v_cmp_ngt_f32_e32 vcc_lo, 0xc2ce8ed0, v23
	;; [unrolled: 2-line block ×3, first 2 shown]
	ds_bpermute_b32 v3, v3, v82
	v_cndmask_b32_e32 v76, 0, v76, vcc_lo
	v_cmp_ngt_f32_e32 vcc_lo, 0xc2ce8ed0, v73
	v_cndmask_b32_e32 v77, 0, v77, vcc_lo
	v_cmp_ngt_f32_e32 vcc_lo, 0xc2ce8ed0, v70
	;; [unrolled: 2-line block ×3, first 2 shown]
	s_wait_dscnt 0x0
	v_dual_max_num_f32 v3, v3, v3 :: v_dual_cndmask_b32 v80, 0, v80
	v_cmp_ngt_f32_e32 vcc_lo, 0xc2ce8ed0, v74
	s_delay_alu instid0(VALU_DEP_2) | instskip(SKIP_1) | instid1(VALU_DEP_2)
	v_dual_max_num_f32 v3, v82, v3 :: v_dual_cndmask_b32 v81, 0, v81, vcc_lo
	v_cmp_nlt_f32_e32 vcc_lo, 0x42b17218, v67
	v_dual_sub_f32 v64, v64, v3 :: v_dual_sub_f32 v65, v65, v3
	v_cndmask_b32_e32 v22, 0x7f800000, v72, vcc_lo
	v_cmp_nlt_f32_e32 vcc_lo, 0x42b17218, v68
	v_cndmask_b32_e32 v62, 0x7f800000, v62, vcc_lo
	v_cmp_nlt_f32_e32 vcc_lo, 0x42b17218, v21
	v_mul_f32_e32 v21, 0x3fb8aa3b, v64
	v_cndmask_b32_e32 v66, 0x7f800000, v63, vcc_lo
	v_cmp_nlt_f32_e32 vcc_lo, 0x42b17218, v23
	v_cndmask_b32_e32 v23, 0x7f800000, v75, vcc_lo
	v_cmp_nlt_f32_e32 vcc_lo, 0x42b17218, v69
	;; [unrolled: 2-line block ×3, first 2 shown]
	v_dual_sub_f32 v73, v20, v3 :: v_dual_mul_f32 v20, 0x3fb8aa3b, v65
	v_cndmask_b32_e32 v67, 0x7f800000, v77, vcc_lo
	v_cmp_nlt_f32_e32 vcc_lo, 0x42b17218, v70
	s_delay_alu instid0(VALU_DEP_3) | instskip(NEXT) | instid1(VALU_DEP_4)
	v_mul_f32_e32 v75, 0x3fb8aa3b, v73
	v_fma_f32 v76, 0x3fb8aa3b, v65, -v20
	v_rndne_f32_e32 v77, v20
	s_delay_alu instid0(VALU_DEP_3)
	v_rndne_f32_e32 v82, v75
	v_cndmask_b32_e32 v68, 0x7f800000, v79, vcc_lo
	v_cmp_nlt_f32_e32 vcc_lo, 0x42b17218, v71
	v_fma_f32 v79, 0x3fb8aa3b, v64, -v21
	v_fmac_f32_e32 v76, 0x32a5705f, v65
	v_sub_f32_e32 v83, v20, v77
	v_cvt_f16_f32_e32 v69, v66
	v_cndmask_b32_e32 v70, 0x7f800000, v80, vcc_lo
	v_cmp_nlt_f32_e32 vcc_lo, 0x42b17218, v74
	v_rndne_f32_e32 v80, v21
	v_fmac_f32_e32 v79, 0x32a5705f, v64
	v_add_f32_e32 v76, v83, v76
	v_cvt_f16_f32_e32 v71, v67
	s_delay_alu instid0(VALU_DEP_4)
	v_sub_f32_e32 v84, v21, v80
	v_cndmask_b32_e32 v72, 0x7f800000, v81, vcc_lo
	v_fma_f32 v81, 0x3fb8aa3b, v73, -v75
	v_pk_add_f32 v[20:21], v[22:23], v[62:63]
	v_cvt_pk_f16_f32 v62, v62, v63
	v_exp_f32_e32 v63, v76
	v_sub_f32_e32 v75, v75, v82
	v_fmac_f32_e32 v81, 0x32a5705f, v73
	v_cvt_pk_f16_f32 v22, v22, v23
	v_add_f32_e32 v23, v84, v79
	v_cvt_i32_f32_e32 v76, v77
	v_cmp_ngt_f32_e32 vcc_lo, 0xc2ce8ed0, v65
	v_cvt_i32_f32_e32 v77, v80
	v_cvt_i32_f32_e32 v79, v82
	v_exp_f32_e32 v23, v23
	v_ldexp_f32 v63, v63, v76
	v_add_f32_e32 v75, v75, v81
	v_and_b32_e32 v80, 0xffff, v69
	v_and_b32_e32 v76, 0xffff, v71
	v_cvt_f16_f32_e32 v74, v72
	v_cndmask_b32_e32 v63, 0, v63, vcc_lo
	v_exp_f32_e32 v75, v75
	v_ldexp_f32 v23, v23, v77
	v_cmp_ngt_f32_e32 vcc_lo, 0xc2ce8ed0, v64
	v_mul_u32_u24_e32 v94, 0x10001, v80
	v_mul_u32_u24_e32 v95, 0x10001, v76
	s_delay_alu instid0(TRANS32_DEP_1)
	v_ldexp_f32 v69, v75, v79
	v_cndmask_b32_e32 v23, 0, v23, vcc_lo
	v_cmp_ngt_f32_e32 vcc_lo, 0xc2ce8ed0, v73
	v_pk_mul_f16 v97, v19, v94
	v_pk_mul_f16 v98, v18, v95
	v_cndmask_b32_e32 v75, 0, v69, vcc_lo
	v_cmp_nlt_f32_e32 vcc_lo, 0x42b17218, v65
	v_cndmask_b32_e32 v69, 0x7f800000, v63, vcc_lo
	v_cmp_nlt_f32_e32 vcc_lo, 0x42b17218, v64
	v_and_b32_e32 v64, 0xffff, v74
	v_cndmask_b32_e32 v71, 0x7f800000, v23, vcc_lo
	s_delay_alu instid0(VALU_DEP_4) | instskip(SKIP_1) | instid1(VALU_DEP_4)
	v_cvt_pk_f16_f32 v23, v68, v69
	v_cmp_nlt_f32_e32 vcc_lo, 0x42b17218, v73
	v_mul_u32_u24_e32 v96, 0x10001, v64
	s_delay_alu instid0(VALU_DEP_4) | instskip(SKIP_1) | instid1(VALU_DEP_3)
	v_cvt_pk_f16_f32 v63, v70, v71
	v_cndmask_b32_e32 v73, 0x7f800000, v75, vcc_lo
	v_pk_mul_f16 v99, v17, v96
	ds_store_2addr_b64 v78, v[22:23], v[62:63] offset1:32
	s_wait_loadcnt 0x1
	ds_store_b128 v53, v[4:7]
	s_wait_loadcnt 0x0
	ds_store_b128 v54, v[8:11]
	s_wait_dscnt 0x0
	s_barrier_signal -1
	s_barrier_wait -1
	ds_load_b128 v[4:7], v52
	v_pk_add_f32 v[8:9], v[68:69], v[70:71]
	s_delay_alu instid0(VALU_DEP_1)
	v_pk_fma_f32 v[26:27], v[26:27], v[72:73], v[8:9]
	ds_load_b128 v[8:11], v52 offset:16
	s_wait_dscnt 0x1
	v_lshrrev_b32_e32 v104, 16, v7
	v_pk_fma_f32 v[28:29], v[28:29], v[66:67], v[20:21]
	v_cvt_f16_f32_e32 v20, v73
	v_dual_lshrrev_b32 v101, 16, v4 :: v_dual_lshrrev_b32 v103, 16, v6
	v_lshrrev_b32_e32 v102, 16, v5
	v_and_b32_e32 v4, 0xffff, v4
	s_delay_alu instid0(VALU_DEP_4)
	v_and_b32_e32 v20, 0xffff, v20
	v_and_b32_e32 v5, 0xffff, v5
	v_mul_u32_u24_e32 v101, 0x10001, v101
	v_and_b32_e32 v6, 0xffff, v6
	v_mul_u32_u24_e32 v4, 0x10001, v4
	v_mul_u32_u24_e32 v20, 0x10001, v20
	;; [unrolled: 1-line block ×3, first 2 shown]
	v_and_b32_e32 v7, 0xffff, v7
	s_wait_dscnt 0x0
	v_dual_lshrrev_b32 v105, 16, v8 :: v_dual_lshrrev_b32 v107, 16, v10
	v_pk_mul_f16 v15, v15, v20
	v_pk_mul_f16 v100, v16, v20
	ds_load_2addr_b64 v[16:19], v61 offset1:32
	ds_load_b128 v[20:23], v52 offset:32
	ds_load_b128 v[62:65], v52 offset:48
	ds_load_2addr_b64 v[66:69], v61 offset0:64 offset1:96
	ds_load_b128 v[70:73], v52 offset:64
	ds_load_b128 v[74:77], v52 offset:80
	ds_load_2addr_b64 v[78:81], v61 offset0:128 offset1:160
	ds_load_2addr_b64 v[82:85], v61 offset0:192 offset1:224
	ds_load_2addr_b64 v[86:89], v60 offset1:32
	ds_load_2addr_b64 v[90:93], v60 offset0:64 offset1:96
	v_lshrrev_b32_e32 v106, 16, v9
	v_and_b32_e32 v8, 0xffff, v8
	v_and_b32_e32 v9, 0xffff, v9
	v_mul_u32_u24_e32 v102, 0x10001, v102
	v_mul_u32_u24_e32 v6, 0x10001, v6
	;; [unrolled: 1-line block ×3, first 2 shown]
	v_lshrrev_b32_e32 v108, 16, v11
	v_and_b32_e32 v10, 0xffff, v10
	v_and_b32_e32 v11, 0xffff, v11
	v_mul_u32_u24_e32 v104, 0x10001, v104
	s_wait_dscnt 0x9
	v_pk_mul_f16 v122, v16, v4
	v_pk_fma_f16 v4, v17, v4, v97
	v_pk_mul_f16 v97, v16, v101
	v_pk_fma_f16 v98, v17, v101, v98
	;; [unrolled: 2-line block ×3, first 2 shown]
	v_pk_fma_f16 v14, v14, v94, v122
	v_mul_u32_u24_e32 v103, 0x10001, v103
	v_mul_u32_u24_e32 v8, 0x10001, v8
	v_pk_fma_f16 v12, v12, v96, v101
	v_mul_u32_u24_e32 v9, 0x10001, v9
	v_pk_fma_f16 v15, v16, v102, v15
	v_pk_fma_f16 v13, v13, v95, v97
	;; [unrolled: 1-line block ×6, first 2 shown]
	s_wait_dscnt 0x8
	v_dual_lshrrev_b32 v109, 16, v20 :: v_dual_lshrrev_b32 v111, 16, v22
	v_lshrrev_b32_e32 v110, 16, v21
	v_and_b32_e32 v20, 0xffff, v20
	v_and_b32_e32 v21, 0xffff, v21
	v_mul_u32_u24_e32 v106, 0x10001, v106
	v_mul_u32_u24_e32 v105, 0x10001, v105
	;; [unrolled: 1-line block ×4, first 2 shown]
	v_pk_fma_f16 v16, v17, v102, v100
	v_pk_fma_f16 v15, v18, v104, v15
	;; [unrolled: 1-line block ×4, first 2 shown]
	s_wait_dscnt 0x6
	v_pk_fma_f16 v4, v67, v8, v4
	v_pk_fma_f16 v5, v67, v9, v5
	;; [unrolled: 1-line block ×4, first 2 shown]
	v_dual_lshrrev_b32 v112, 16, v23 :: v_dual_lshrrev_b32 v113, 16, v62
	v_and_b32_e32 v22, 0xffff, v22
	v_and_b32_e32 v23, 0xffff, v23
	v_mul_u32_u24_e32 v108, 0x10001, v108
	v_mul_u32_u24_e32 v107, 0x10001, v107
	;; [unrolled: 1-line block ×4, first 2 shown]
	v_pk_fma_f16 v12, v66, v106, v15
	v_pk_fma_f16 v14, v67, v105, v17
	;; [unrolled: 1-line block ×7, first 2 shown]
	v_dual_lshrrev_b32 v114, 16, v63 :: v_dual_lshrrev_b32 v115, 16, v64
	v_and_b32_e32 v62, 0xffff, v62
	v_and_b32_e32 v63, 0xffff, v63
	v_mul_u32_u24_e32 v109, 0x10001, v109
	v_mul_u32_u24_e32 v110, 0x10001, v110
	;; [unrolled: 1-line block ×4, first 2 shown]
	v_pk_fma_f16 v16, v19, v104, v16
	v_pk_fma_f16 v9, v68, v108, v12
	;; [unrolled: 1-line block ×4, first 2 shown]
	s_wait_dscnt 0x3
	v_pk_fma_f16 v4, v79, v20, v4
	v_pk_fma_f16 v5, v79, v21, v5
	;; [unrolled: 1-line block ×4, first 2 shown]
	v_lshrrev_b32_e32 v116, 16, v65
	v_and_b32_e32 v64, 0xffff, v64
	v_and_b32_e32 v65, 0xffff, v65
	v_mul_u32_u24_e32 v111, 0x10001, v111
	v_mul_u32_u24_e32 v112, 0x10001, v112
	;; [unrolled: 1-line block ×4, first 2 shown]
	v_pk_fma_f16 v15, v67, v106, v16
	v_pk_fma_f16 v9, v78, v110, v9
	;; [unrolled: 1-line block ×8, first 2 shown]
	v_dual_lshrrev_b32 v117, 16, v70 :: v_dual_lshrrev_b32 v118, 16, v71
	v_and_b32_e32 v70, 0xffff, v70
	v_and_b32_e32 v71, 0xffff, v71
	v_mul_u32_u24_e32 v113, 0x10001, v113
	v_mul_u32_u24_e32 v114, 0x10001, v114
	v_mul_u32_u24_e32 v64, 0x10001, v64
	v_mul_u32_u24_e32 v65, 0x10001, v65
	v_pk_fma_f16 v12, v69, v108, v15
	v_pk_fma_f16 v9, v80, v112, v9
	;; [unrolled: 1-line block ×4, first 2 shown]
	s_wait_dscnt 0x2
	v_pk_fma_f16 v4, v83, v62, v4
	v_pk_fma_f16 v5, v83, v63, v5
	;; [unrolled: 1-line block ×4, first 2 shown]
	v_dual_lshrrev_b32 v119, 16, v72 :: v_dual_lshrrev_b32 v120, 16, v73
	v_and_b32_e32 v72, 0xffff, v72
	v_and_b32_e32 v73, 0xffff, v73
	v_mul_u32_u24_e32 v115, 0x10001, v115
	v_mul_u32_u24_e32 v116, 0x10001, v116
	;; [unrolled: 1-line block ×4, first 2 shown]
	v_pk_fma_f16 v11, v79, v110, v12
	v_pk_fma_f16 v9, v82, v114, v9
	;; [unrolled: 1-line block ×8, first 2 shown]
	v_and_b32_e32 v121, 0xffff, v74
	v_mul_u32_u24_e32 v117, 0x10001, v117
	v_mul_u32_u24_e32 v118, 0x10001, v118
	;; [unrolled: 1-line block ×4, first 2 shown]
	v_pk_fma_f16 v11, v81, v112, v11
	v_pk_fma_f16 v9, v84, v116, v9
	v_pk_fma_f16 v10, v85, v115, v10
	v_pk_fma_f16 v8, v84, v115, v8
	s_wait_dscnt 0x1
	v_pk_fma_f16 v4, v87, v70, v4
	v_pk_fma_f16 v5, v87, v71, v5
	;; [unrolled: 1-line block ×4, first 2 shown]
	v_and_b32_e32 v13, 0xffff, v75
	v_mul_u32_u24_e32 v119, 0x10001, v119
	v_mul_u32_u24_e32 v120, 0x10001, v120
	v_pk_fma_f16 v11, v83, v114, v11
	v_pk_fma_f16 v9, v86, v118, v9
	;; [unrolled: 1-line block ×7, first 2 shown]
	v_dual_lshrrev_b32 v12, 16, v74 :: v_dual_lshrrev_b32 v14, 16, v75
	v_pk_fma_f16 v15, v89, v73, v5
	v_mul_u32_u24_e32 v5, 0x10001, v121
	v_mul_u32_u24_e32 v13, 0x10001, v13
	v_pk_fma_f16 v11, v85, v116, v11
	v_pk_fma_f16 v9, v88, v120, v9
	;; [unrolled: 1-line block ×4, first 2 shown]
	v_mul_u32_u24_e32 v12, 0x10001, v12
	v_mul_u32_u24_e32 v14, 0x10001, v14
	s_wait_dscnt 0x0
	v_pk_fma_f16 v17, v90, v5, v6
	v_pk_fma_f16 v19, v90, v13, v7
	;; [unrolled: 1-line block ×3, first 2 shown]
	ds_load_b128 v[4:7], v52 offset:96
	v_pk_fma_f16 v11, v87, v118, v11
	v_pk_fma_f16 v18, v90, v12, v8
	;; [unrolled: 1-line block ×4, first 2 shown]
	v_and_b32_e32 v8, 0xffff, v76
	v_lshrrev_b32_e32 v9, 16, v76
	v_and_b32_e32 v10, 0xffff, v77
	v_pk_fma_f16 v16, v89, v120, v11
	v_pk_fma_f16 v22, v91, v13, v15
	v_lshrrev_b32_e32 v13, 16, v77
	v_mul_u32_u24_e32 v15, 0x10001, v8
	v_mul_u32_u24_e32 v23, 0x10001, v9
	;; [unrolled: 1-line block ×3, first 2 shown]
	ds_load_2addr_b64 v[8:11], v60 offset0:128 offset1:160
	v_mul_u32_u24_e32 v63, 0x10001, v13
	v_pk_fma_f16 v16, v91, v14, v16
	v_pk_fma_f16 v17, v92, v15, v17
	;; [unrolled: 1-line block ×5, first 2 shown]
	ds_load_b128 v[12:15], v52 offset:112
	s_wait_dscnt 0x2
	v_and_b32_e32 v64, 0xffff, v4
	v_lshrrev_b32_e32 v4, 16, v4
	v_and_b32_e32 v65, 0xffff, v5
	v_lshrrev_b32_e32 v5, 16, v5
	v_pk_fma_f16 v19, v92, v62, v19
	v_pk_fma_f16 v20, v92, v63, v20
	v_pk_fma_f16 v22, v93, v62, v22
	v_mul_u32_u24_e32 v62, 0x10001, v64
	v_mul_u32_u24_e32 v4, 0x10001, v4
	;; [unrolled: 1-line block ×4, first 2 shown]
	v_lshrrev_b32_e32 v5, 16, v6
	s_wait_dscnt 0x1
	v_pk_fma_f16 v17, v8, v62, v17
	v_pk_fma_f16 v18, v8, v4, v18
	;; [unrolled: 1-line block ×6, first 2 shown]
	v_and_b32_e32 v4, 0xffff, v6
	v_pk_fma_f16 v16, v93, v63, v16
	v_pk_fma_f16 v22, v9, v64, v22
	v_and_b32_e32 v23, 0xffff, v7
	v_lshrrev_b32_e32 v62, 16, v7
	v_mul_u32_u24_e32 v63, 0x10001, v4
	v_mul_u32_u24_e32 v64, 0x10001, v5
	ds_load_2addr_b64 v[4:7], v60 offset0:192 offset1:224
	v_mul_u32_u24_e32 v23, 0x10001, v23
	v_mul_u32_u24_e32 v62, 0x10001, v62
	v_pk_fma_f16 v9, v9, v65, v16
	v_pk_fma_f16 v16, v10, v63, v17
	v_pk_fma_f16 v17, v10, v64, v18
	v_pk_fma_f16 v18, v10, v23, v19
	v_pk_fma_f16 v8, v10, v62, v8
	v_pk_fma_f16 v10, v11, v63, v20
	v_pk_fma_f16 v19, v11, v64, v21
	s_wait_dscnt 0x1
	v_and_b32_e32 v20, 0xffff, v12
	v_lshrrev_b32_e32 v12, 16, v12
	v_and_b32_e32 v21, 0xffff, v13
	v_lshrrev_b32_e32 v13, 16, v13
	v_add_nc_u64_e32 v[102:103], s[24:25], v[38:39]
	v_add_nc_u64_e32 v[104:105], s[24:25], v[40:41]
	v_pk_fma_f16 v22, v11, v23, v22
	v_mul_u32_u24_e32 v20, 0x10001, v20
	v_mul_u32_u24_e32 v13, 0x10001, v13
	;; [unrolled: 1-line block ×4, first 2 shown]
	v_pk_fma_f16 v23, v11, v62, v9
	v_dual_lshrrev_b32 v9, 16, v14 :: v_dual_lshrrev_b32 v126, 16, v15
	s_wait_dscnt 0x0
	v_pk_fma_f16 v123, v4, v13, v8
	v_and_b32_e32 v8, 0xffff, v14
	v_add_nc_u64_e32 v[118:119], v[102:103], v[32:33]
	v_add_nc_u64_e32 v[120:121], v[104:105], v[32:33]
	v_pk_fma_f16 v16, v4, v20, v16
	v_pk_fma_f16 v17, v4, v12, v17
	;; [unrolled: 1-line block ×6, first 2 shown]
	v_add_nc_u32_e32 v4, 0x4000, v44
	v_mul_u32_u24_e32 v14, 0x10001, v8
	v_mul_u32_u24_e32 v19, 0x10001, v9
	v_pk_fma_f16 v127, v5, v13, v23
	v_add_nc_u32_e32 v5, 0x4800, v44
	v_and_b32_e32 v125, 0xffff, v15
	ds_load_2addr_b64 v[8:11], v4 offset1:32
	v_pk_fma_f16 v128, v6, v14, v16
	v_pk_fma_f16 v129, v6, v19, v17
	;; [unrolled: 1-line block ×4, first 2 shown]
	ds_load_b128 v[12:15], v52 offset:128
	ds_load_b128 v[16:19], v52 offset:144
	ds_load_2addr_b64 v[20:23], v4 offset0:64 offset1:96
	ds_load_2addr_b64 v[62:65], v4 offset0:128 offset1:160
	ds_load_b128 v[66:69], v52 offset:160
	ds_load_b128 v[70:73], v52 offset:176
	ds_load_2addr_b64 v[74:77], v4 offset0:192 offset1:224
	ds_load_2addr_b64 v[78:81], v5 offset1:32
	ds_load_2addr_b64 v[82:85], v5 offset0:64 offset1:96
	ds_load_b128 v[86:89], v52 offset:192
	ds_load_b128 v[90:93], v52 offset:208
	ds_load_2addr_b64 v[94:97], v5 offset0:128 offset1:160
	ds_load_2addr_b64 v[98:101], v5 offset0:192 offset1:224
	ds_load_b128 v[102:105], v52 offset:224
	ds_load_b128 v[106:109], v52 offset:240
	s_wait_dscnt 0x0
	s_barrier_signal -1
	s_barrier_wait -1
	s_clause 0x1
	global_load_b128 v[110:113], v[118:119], off
	global_load_b128 v[114:117], v[120:121], off
	s_wait_xcnt 0x1
	v_mul_u32_u24_e32 v118, 0x10001, v125
	v_mul_u32_u24_e32 v119, 0x10001, v126
	s_wait_loadcnt 0x1
	ds_store_b128 v53, v[110:113]
	s_wait_loadcnt 0x0
	ds_store_b128 v54, v[114:117]
	v_pk_fma_f16 v120, v6, v118, v122
	v_pk_fma_f16 v6, v6, v119, v123
	;; [unrolled: 1-line block ×3, first 2 shown]
	v_and_b32_e32 v121, 0xffff, v12
	v_pk_fma_f16 v7, v7, v119, v127
	v_lshrrev_b32_e32 v12, 16, v12
	v_and_b32_e32 v119, 0xffff, v13
	v_lshrrev_b32_e32 v13, 16, v13
	v_mul_u32_u24_e32 v121, 0x10001, v121
	v_and_b32_e32 v124, 0xffff, v15
	v_mul_u32_u24_e32 v12, 0x10001, v12
	v_mul_u32_u24_e32 v119, 0x10001, v119
	;; [unrolled: 1-line block ×3, first 2 shown]
	v_pk_fma_f16 v122, v8, v121, v128
	v_lshrrev_b32_e32 v15, 16, v15
	v_pk_fma_f16 v123, v8, v12, v129
	v_pk_fma_f16 v120, v8, v119, v120
	;; [unrolled: 1-line block ×4, first 2 shown]
	v_and_b32_e32 v121, 0xffff, v14
	v_lshrrev_b32_e32 v14, 16, v14
	v_pk_fma_f16 v12, v9, v12, v131
	v_pk_fma_f16 v118, v9, v119, v118
	v_mul_u32_u24_e32 v15, 0x10001, v15
	v_mul_u32_u24_e32 v119, 0x10001, v121
	;; [unrolled: 1-line block ×4, first 2 shown]
	v_pk_fma_f16 v7, v9, v13, v7
	v_pk_fma_f16 v6, v10, v15, v6
	;; [unrolled: 1-line block ×6, first 2 shown]
	v_and_b32_e32 v12, 0xffff, v16
	v_pk_fma_f16 v8, v11, v119, v8
	v_lshrrev_b32_e32 v14, 16, v16
	v_and_b32_e32 v16, 0xffff, v17
	v_lshrrev_b32_e32 v17, 16, v17
	v_mul_u32_u24_e32 v12, 0x10001, v12
	v_pk_fma_f16 v118, v11, v121, v118
	v_mul_u32_u24_e32 v14, 0x10001, v14
	v_mul_u32_u24_e32 v16, 0x10001, v16
	;; [unrolled: 1-line block ×3, first 2 shown]
	v_pk_fma_f16 v9, v20, v12, v9
	v_pk_fma_f16 v8, v21, v12, v8
	v_and_b32_e32 v12, 0xffff, v18
	v_pk_fma_f16 v7, v11, v15, v7
	v_pk_fma_f16 v11, v20, v14, v13
	;; [unrolled: 1-line block ×3, first 2 shown]
	v_dual_lshrrev_b32 v14, 16, v18 :: v_dual_lshrrev_b32 v18, 16, v19
	v_and_b32_e32 v15, 0xffff, v19
	v_mul_u32_u24_e32 v12, 0x10001, v12
	v_pk_fma_f16 v13, v20, v16, v120
	v_pk_fma_f16 v6, v20, v17, v6
	;; [unrolled: 1-line block ×3, first 2 shown]
	v_mul_u32_u24_e32 v14, 0x10001, v14
	v_mul_u32_u24_e32 v15, 0x10001, v15
	v_pk_fma_f16 v7, v21, v17, v7
	v_pk_fma_f16 v9, v22, v12, v9
	;; [unrolled: 1-line block ×3, first 2 shown]
	v_and_b32_e32 v12, 0xffff, v66
	v_and_b32_e32 v17, 0xffff, v67
	v_pk_fma_f16 v11, v22, v14, v11
	v_pk_fma_f16 v13, v22, v15, v13
	;; [unrolled: 1-line block ×3, first 2 shown]
	v_dual_lshrrev_b32 v14, 16, v66 :: v_dual_lshrrev_b32 v19, 16, v67
	v_pk_fma_f16 v15, v23, v15, v16
	v_mul_u32_u24_e32 v12, 0x10001, v12
	v_mul_u32_u24_e32 v16, 0x10001, v17
	s_delay_alu instid0(VALU_DEP_4)
	v_mul_u32_u24_e32 v14, 0x10001, v14
	v_mul_u32_u24_e32 v18, 0x10001, v18
	;; [unrolled: 1-line block ×3, first 2 shown]
	v_pk_fma_f16 v9, v62, v12, v9
	v_pk_fma_f16 v13, v62, v16, v13
	;; [unrolled: 1-line block ×3, first 2 shown]
	v_and_b32_e32 v12, 0xffff, v68
	v_pk_fma_f16 v15, v63, v16, v15
	v_and_b32_e32 v16, 0xffff, v69
	v_pk_fma_f16 v11, v62, v14, v11
	v_pk_fma_f16 v10, v63, v14, v10
	v_lshrrev_b32_e32 v14, 16, v68
	v_mul_u32_u24_e32 v12, 0x10001, v12
	v_mul_u32_u24_e32 v16, 0x10001, v16
	v_pk_fma_f16 v6, v22, v18, v6
	v_pk_fma_f16 v7, v23, v18, v7
	v_lshrrev_b32_e32 v18, 16, v69
	v_mul_u32_u24_e32 v14, 0x10001, v14
	v_pk_fma_f16 v9, v64, v12, v9
	v_pk_fma_f16 v8, v65, v12, v8
	;; [unrolled: 1-line block ×3, first 2 shown]
	v_and_b32_e32 v13, 0xffff, v70
	v_pk_fma_f16 v6, v62, v17, v6
	v_pk_fma_f16 v7, v63, v17, v7
	v_mul_u32_u24_e32 v17, 0x10001, v18
	v_pk_fma_f16 v11, v64, v14, v11
	v_pk_fma_f16 v10, v65, v14, v10
	v_dual_lshrrev_b32 v14, 16, v70 :: v_dual_lshrrev_b32 v19, 16, v71
	v_and_b32_e32 v18, 0xffff, v71
	v_mul_u32_u24_e32 v13, 0x10001, v13
	v_pk_fma_f16 v6, v64, v17, v6
	v_pk_fma_f16 v15, v65, v16, v15
	v_mul_u32_u24_e32 v14, 0x10001, v14
	v_mul_u32_u24_e32 v16, 0x10001, v18
	v_pk_fma_f16 v7, v65, v17, v7
	v_pk_fma_f16 v9, v74, v13, v9
	v_and_b32_e32 v17, 0xffff, v72
	v_pk_fma_f16 v8, v75, v13, v8
	v_lshrrev_b32_e32 v13, 16, v72
	v_pk_fma_f16 v11, v74, v14, v11
	v_pk_fma_f16 v10, v75, v14, v10
	;; [unrolled: 1-line block ×3, first 2 shown]
	v_mul_u32_u24_e32 v15, 0x10001, v17
	v_lshrrev_b32_e32 v17, 16, v73
	v_mul_u32_u24_e32 v13, 0x10001, v13
	v_mul_u32_u24_e32 v18, 0x10001, v19
	v_pk_fma_f16 v12, v74, v16, v12
	v_pk_fma_f16 v9, v76, v15, v9
	;; [unrolled: 1-line block ×5, first 2 shown]
	v_and_b32_e32 v13, 0xffff, v86
	v_dual_lshrrev_b32 v15, 16, v86 :: v_dual_lshrrev_b32 v19, 16, v87
	v_and_b32_e32 v16, 0xffff, v73
	v_pk_fma_f16 v6, v74, v18, v6
	s_delay_alu instid0(VALU_DEP_4) | instskip(NEXT) | instid1(VALU_DEP_4)
	v_mul_u32_u24_e32 v13, 0x10001, v13
	v_mul_u32_u24_e32 v15, 0x10001, v15
	v_pk_fma_f16 v7, v75, v18, v7
	v_mul_u32_u24_e32 v16, 0x10001, v16
	v_and_b32_e32 v18, 0xffff, v87
	v_pk_fma_f16 v9, v78, v13, v9
	v_pk_fma_f16 v11, v78, v15, v11
	;; [unrolled: 1-line block ×4, first 2 shown]
	v_and_b32_e32 v13, 0xffff, v88
	v_lshrrev_b32_e32 v15, 16, v88
	v_mul_u32_u24_e32 v17, 0x10001, v17
	v_pk_fma_f16 v12, v76, v16, v12
	v_pk_fma_f16 v14, v77, v16, v14
	v_mul_u32_u24_e32 v16, 0x10001, v18
	v_mul_u32_u24_e32 v18, 0x10001, v19
	v_lshrrev_b32_e32 v19, 16, v89
	v_mul_u32_u24_e32 v13, 0x10001, v13
	v_mul_u32_u24_e32 v15, 0x10001, v15
	v_pk_fma_f16 v6, v76, v17, v6
	v_pk_fma_f16 v7, v77, v17, v7
	v_and_b32_e32 v17, 0xffff, v89
	v_pk_fma_f16 v9, v80, v13, v9
	v_pk_fma_f16 v11, v80, v15, v11
	v_pk_fma_f16 v8, v81, v13, v8
	v_pk_fma_f16 v10, v81, v15, v10
	v_and_b32_e32 v13, 0xffff, v90
	v_lshrrev_b32_e32 v15, 16, v90
	v_pk_fma_f16 v12, v78, v16, v12
	v_pk_fma_f16 v14, v79, v16, v14
	v_mul_u32_u24_e32 v16, 0x10001, v17
	v_mul_u32_u24_e32 v17, 0x10001, v19
	v_lshrrev_b32_e32 v19, 16, v91
	v_mul_u32_u24_e32 v13, 0x10001, v13
	v_mul_u32_u24_e32 v15, 0x10001, v15
	v_pk_fma_f16 v6, v78, v18, v6
	v_pk_fma_f16 v7, v79, v18, v7
	v_and_b32_e32 v18, 0xffff, v91
	v_pk_fma_f16 v9, v82, v13, v9
	v_pk_fma_f16 v11, v82, v15, v11
	v_pk_fma_f16 v8, v83, v13, v8
	v_pk_fma_f16 v10, v83, v15, v10
	v_and_b32_e32 v13, 0xffff, v92
	v_lshrrev_b32_e32 v15, 16, v92
	;; [unrolled: 16-line block ×4, first 2 shown]
	v_pk_fma_f16 v12, v84, v16, v12
	v_pk_fma_f16 v6, v84, v17, v6
	;; [unrolled: 1-line block ×3, first 2 shown]
	v_mul_u32_u24_e32 v16, 0x10001, v18
	v_mul_u32_u24_e32 v18, 0x10001, v19
	v_pk_fma_f16 v7, v85, v17, v7
	v_and_b32_e32 v17, 0xffff, v105
	v_lshrrev_b32_e32 v19, 16, v105
	v_mul_u32_u24_e32 v13, 0x10001, v13
	v_mul_u32_u24_e32 v15, 0x10001, v15
	v_pk_fma_f16 v12, v94, v16, v12
	v_pk_fma_f16 v6, v94, v18, v6
	;; [unrolled: 1-line block ×3, first 2 shown]
	v_mul_u32_u24_e32 v16, 0x10001, v17
	v_mul_u32_u24_e32 v17, 0x10001, v19
	v_pk_fma_f16 v7, v95, v18, v7
	v_pk_fma_f16 v9, v96, v13, v9
	;; [unrolled: 1-line block ×5, first 2 shown]
	v_and_b32_e32 v13, 0xffff, v106
	v_dual_lshrrev_b32 v15, 16, v106 :: v_dual_lshrrev_b32 v19, 16, v107
	v_and_b32_e32 v18, 0xffff, v107
	v_pk_fma_f16 v12, v96, v16, v12
	v_pk_fma_f16 v6, v96, v17, v6
	;; [unrolled: 1-line block ×3, first 2 shown]
	v_mul_u32_u24_e32 v13, 0x10001, v13
	v_mul_u32_u24_e32 v16, 0x10001, v18
	v_mul_u32_u24_e32 v18, 0x10001, v19
	v_mul_u32_u24_e32 v15, 0x10001, v15
	v_pk_fma_f16 v17, v97, v17, v7
	v_pk_fma_f16 v19, v98, v13, v9
	;; [unrolled: 1-line block ×4, first 2 shown]
	s_wait_dscnt 0x0
	s_barrier_signal -1
	s_barrier_wait -1
	ds_load_b128 v[6:9], v52 offset:256
	v_pk_fma_f16 v20, v98, v15, v11
	v_pk_fma_f16 v21, v98, v16, v12
	;; [unrolled: 1-line block ×3, first 2 shown]
	v_and_b32_e32 v10, 0xffff, v108
	v_dual_lshrrev_b32 v11, 16, v108 :: v_dual_lshrrev_b32 v13, 16, v109
	v_and_b32_e32 v12, 0xffff, v109
	v_pk_fma_f16 v14, v99, v16, v14
	v_pk_fma_f16 v18, v99, v18, v17
	v_mul_u32_u24_e32 v16, 0x10001, v10
	v_mul_u32_u24_e32 v17, 0x10001, v11
	;; [unrolled: 1-line block ×4, first 2 shown]
	ds_load_2addr_b64 v[10:13], v61 offset1:32
	v_pk_fma_f16 v66, v100, v16, v19
	v_pk_fma_f16 v67, v100, v17, v20
	;; [unrolled: 1-line block ×5, first 2 shown]
	ds_load_b128 v[14:17], v52 offset:272
	s_wait_dscnt 0x2
	v_and_b32_e32 v19, 0xffff, v6
	v_lshrrev_b32_e32 v6, 16, v6
	v_and_b32_e32 v20, 0xffff, v7
	v_lshrrev_b32_e32 v7, 16, v7
	v_pk_fma_f16 v68, v100, v62, v21
	v_pk_fma_f16 v22, v100, v63, v22
	v_mul_u32_u24_e32 v72, 0x10001, v19
	v_mul_u32_u24_e32 v6, 0x10001, v6
	;; [unrolled: 1-line block ×4, first 2 shown]
	v_lshrrev_b32_e32 v7, 16, v8
	v_pk_fma_f16 v71, v101, v63, v18
	ds_load_b128 v[18:21], v52 offset:288
	ds_load_b128 v[62:65], v52 offset:304
	s_wait_dscnt 0x3
	v_pk_fma_f16 v66, v10, v72, v66
	v_pk_fma_f16 v67, v10, v6, v67
	;; [unrolled: 1-line block ×6, first 2 shown]
	v_and_b32_e32 v6, 0xffff, v8
	v_pk_fma_f16 v69, v11, v73, v70
	v_and_b32_e32 v70, 0xffff, v9
	v_lshrrev_b32_e32 v72, 16, v9
	v_mul_u32_u24_e32 v75, 0x10001, v7
	v_mul_u32_u24_e32 v73, 0x10001, v6
	ds_load_2addr_b64 v[6:9], v61 offset0:64 offset1:96
	v_mul_u32_u24_e32 v70, 0x10001, v70
	v_mul_u32_u24_e32 v72, 0x10001, v72
	v_pk_fma_f16 v11, v11, v74, v71
	v_pk_fma_f16 v66, v12, v73, v66
	v_pk_fma_f16 v67, v12, v75, v67
	v_pk_fma_f16 v68, v12, v70, v68
	v_pk_fma_f16 v10, v12, v72, v10
	v_pk_fma_f16 v12, v13, v73, v22
	v_pk_fma_f16 v22, v13, v75, v23
	s_wait_dscnt 0x3
	v_and_b32_e32 v23, 0xffff, v14
	v_lshrrev_b32_e32 v14, 16, v14
	v_and_b32_e32 v71, 0xffff, v15
	v_lshrrev_b32_e32 v15, 16, v15
	v_pk_fma_f16 v69, v13, v70, v69
	v_mul_u32_u24_e32 v23, 0x10001, v23
	v_mul_u32_u24_e32 v14, 0x10001, v14
	;; [unrolled: 1-line block ×4, first 2 shown]
	v_pk_fma_f16 v71, v13, v72, v11
	s_wait_dscnt 0x0
	v_pk_fma_f16 v66, v6, v23, v66
	v_pk_fma_f16 v67, v6, v14, v67
	;; [unrolled: 1-line block ×4, first 2 shown]
	v_and_b32_e32 v10, 0xffff, v16
	v_lshrrev_b32_e32 v11, 16, v16
	v_pk_fma_f16 v23, v7, v23, v12
	v_pk_fma_f16 v14, v7, v14, v22
	;; [unrolled: 1-line block ×3, first 2 shown]
	v_and_b32_e32 v22, 0xffff, v17
	v_lshrrev_b32_e32 v17, 16, v17
	v_mul_u32_u24_e32 v69, 0x10001, v10
	v_mul_u32_u24_e32 v70, 0x10001, v11
	ds_load_2addr_b64 v[10:13], v61 offset0:128 offset1:160
	v_mul_u32_u24_e32 v22, 0x10001, v22
	v_mul_u32_u24_e32 v17, 0x10001, v17
	v_pk_fma_f16 v7, v7, v15, v71
	v_pk_fma_f16 v15, v8, v69, v66
	;; [unrolled: 1-line block ×6, first 2 shown]
	v_and_b32_e32 v23, 0xffff, v18
	v_lshrrev_b32_e32 v18, 16, v18
	v_and_b32_e32 v68, 0xffff, v19
	v_lshrrev_b32_e32 v19, 16, v19
	v_pk_fma_f16 v16, v9, v22, v16
	v_mul_u32_u24_e32 v22, 0x10001, v23
	v_mul_u32_u24_e32 v18, 0x10001, v18
	;; [unrolled: 1-line block ×4, first 2 shown]
	v_pk_fma_f16 v14, v9, v70, v14
	v_pk_fma_f16 v17, v9, v17, v7
	s_wait_dscnt 0x0
	v_pk_fma_f16 v15, v10, v22, v15
	v_pk_fma_f16 v66, v10, v18, v66
	;; [unrolled: 1-line block ×4, first 2 shown]
	v_and_b32_e32 v6, 0xffff, v20
	v_dual_lshrrev_b32 v7, 16, v20 :: v_dual_lshrrev_b32 v20, 16, v21
	v_pk_fma_f16 v22, v11, v22, v8
	v_pk_fma_f16 v14, v11, v18, v14
	;; [unrolled: 1-line block ×3, first 2 shown]
	v_and_b32_e32 v18, 0xffff, v21
	v_mul_u32_u24_e32 v21, 0x10001, v6
	v_mul_u32_u24_e32 v23, 0x10001, v7
	ds_load_2addr_b64 v[6:9], v61 offset0:192 offset1:224
	v_mul_u32_u24_e32 v20, 0x10001, v20
	v_mul_u32_u24_e32 v18, 0x10001, v18
	v_pk_fma_f16 v11, v11, v19, v17
	v_pk_fma_f16 v15, v12, v21, v15
	;; [unrolled: 1-line block ×7, first 2 shown]
	v_and_b32_e32 v21, 0xffff, v62
	v_dual_lshrrev_b32 v22, 16, v62 :: v_dual_lshrrev_b32 v61, 16, v63
	v_and_b32_e32 v23, 0xffff, v63
	v_pk_fma_f16 v16, v13, v18, v16
	s_delay_alu instid0(VALU_DEP_4) | instskip(NEXT) | instid1(VALU_DEP_4)
	v_mul_u32_u24_e32 v18, 0x10001, v21
	v_mul_u32_u24_e32 v21, 0x10001, v22
	v_pk_fma_f16 v20, v13, v20, v11
	v_mul_u32_u24_e32 v22, 0x10001, v23
	v_mul_u32_u24_e32 v23, 0x10001, v61
	s_wait_dscnt 0x0
	v_pk_fma_f16 v61, v6, v18, v15
	v_pk_fma_f16 v62, v6, v21, v17
	;; [unrolled: 1-line block ×5, first 2 shown]
	ds_load_b128 v[10:13], v52 offset:320
	v_pk_fma_f16 v21, v7, v21, v14
	v_and_b32_e32 v14, 0xffff, v64
	v_dual_lshrrev_b32 v15, 16, v64 :: v_dual_lshrrev_b32 v63, 16, v65
	v_and_b32_e32 v17, 0xffff, v65
	v_pk_fma_f16 v22, v7, v22, v16
	s_delay_alu instid0(VALU_DEP_4) | instskip(NEXT) | instid1(VALU_DEP_4)
	v_mul_u32_u24_e32 v64, 0x10001, v14
	v_mul_u32_u24_e32 v65, 0x10001, v15
	;; [unrolled: 1-line block ×4, first 2 shown]
	ds_load_2addr_b64 v[14:17], v60 offset1:32
	v_pk_fma_f16 v7, v7, v23, v20
	v_pk_fma_f16 v23, v8, v64, v61
	;; [unrolled: 1-line block ×7, first 2 shown]
	ds_load_b128 v[18:21], v52 offset:336
	s_wait_dscnt 0x2
	v_and_b32_e32 v65, 0xffff, v10
	v_lshrrev_b32_e32 v10, 16, v10
	v_and_b32_e32 v67, 0xffff, v11
	v_lshrrev_b32_e32 v11, 16, v11
	v_pk_fma_f16 v22, v9, v66, v22
	v_mul_u32_u24_e32 v65, 0x10001, v65
	v_mul_u32_u24_e32 v10, 0x10001, v10
	;; [unrolled: 1-line block ×4, first 2 shown]
	v_pk_fma_f16 v63, v9, v63, v7
	v_lshrrev_b32_e32 v7, 16, v12
	s_wait_dscnt 0x1
	v_pk_fma_f16 v23, v14, v65, v23
	v_pk_fma_f16 v61, v14, v10, v61
	;; [unrolled: 1-line block ×4, first 2 shown]
	v_and_b32_e32 v6, 0xffff, v12
	v_pk_fma_f16 v65, v15, v65, v8
	v_pk_fma_f16 v10, v15, v10, v64
	;; [unrolled: 1-line block ×3, first 2 shown]
	v_and_b32_e32 v22, 0xffff, v13
	v_lshrrev_b32_e32 v13, 16, v13
	v_mul_u32_u24_e32 v64, 0x10001, v6
	v_mul_u32_u24_e32 v66, 0x10001, v7
	ds_load_2addr_b64 v[6:9], v60 offset0:64 offset1:96
	v_mul_u32_u24_e32 v22, 0x10001, v22
	v_mul_u32_u24_e32 v13, 0x10001, v13
	v_pk_fma_f16 v11, v15, v11, v63
	v_pk_fma_f16 v15, v16, v64, v23
	;; [unrolled: 1-line block ×5, first 2 shown]
	s_wait_dscnt 0x1
	v_and_b32_e32 v10, 0xffff, v18
	v_pk_fma_f16 v14, v16, v13, v14
	v_pk_fma_f16 v16, v17, v64, v65
	v_lshrrev_b32_e32 v18, 16, v18
	v_and_b32_e32 v63, 0xffff, v19
	v_lshrrev_b32_e32 v19, 16, v19
	v_mul_u32_u24_e32 v10, 0x10001, v10
	v_pk_fma_f16 v22, v17, v22, v12
	v_mul_u32_u24_e32 v18, 0x10001, v18
	v_mul_u32_u24_e32 v63, 0x10001, v63
	;; [unrolled: 1-line block ×3, first 2 shown]
	v_pk_fma_f16 v64, v17, v13, v11
	s_wait_dscnt 0x0
	v_pk_fma_f16 v65, v6, v10, v15
	v_pk_fma_f16 v66, v7, v10, v16
	ds_load_b128 v[10:13], v52 offset:352
	v_pk_fma_f16 v23, v6, v18, v23
	v_pk_fma_f16 v61, v6, v63, v61
	;; [unrolled: 1-line block ×3, first 2 shown]
	v_and_b32_e32 v14, 0xffff, v20
	v_dual_lshrrev_b32 v15, 16, v20 :: v_dual_lshrrev_b32 v20, 16, v21
	v_and_b32_e32 v16, 0xffff, v21
	v_pk_fma_f16 v18, v7, v18, v62
	v_pk_fma_f16 v22, v7, v63, v22
	v_mul_u32_u24_e32 v21, 0x10001, v14
	v_mul_u32_u24_e32 v62, 0x10001, v15
	;; [unrolled: 1-line block ×3, first 2 shown]
	ds_load_2addr_b64 v[14:17], v60 offset0:128 offset1:160
	v_mul_u32_u24_e32 v67, 0x10001, v20
	v_pk_fma_f16 v7, v7, v19, v64
	v_pk_fma_f16 v64, v8, v21, v65
	;; [unrolled: 1-line block ×7, first 2 shown]
	ds_load_b128 v[18:21], v52 offset:368
	s_wait_dscnt 0x2
	v_and_b32_e32 v65, 0xffff, v10
	v_lshrrev_b32_e32 v10, 16, v10
	v_and_b32_e32 v66, 0xffff, v11
	v_lshrrev_b32_e32 v11, 16, v11
	v_pk_fma_f16 v22, v9, v63, v22
	v_mul_u32_u24_e32 v63, 0x10001, v65
	v_mul_u32_u24_e32 v10, 0x10001, v10
	;; [unrolled: 1-line block ×4, first 2 shown]
	v_pk_fma_f16 v66, v9, v67, v7
	s_wait_dscnt 0x1
	v_pk_fma_f16 v64, v14, v63, v64
	v_pk_fma_f16 v23, v14, v10, v23
	;; [unrolled: 1-line block ×4, first 2 shown]
	v_and_b32_e32 v6, 0xffff, v12
	v_lshrrev_b32_e32 v7, 16, v12
	v_pk_fma_f16 v63, v15, v63, v8
	v_pk_fma_f16 v10, v15, v10, v62
	;; [unrolled: 1-line block ×3, first 2 shown]
	v_and_b32_e32 v22, 0xffff, v13
	v_lshrrev_b32_e32 v13, 16, v13
	v_mul_u32_u24_e32 v62, 0x10001, v6
	v_mul_u32_u24_e32 v65, 0x10001, v7
	ds_load_2addr_b64 v[6:9], v60 offset0:192 offset1:224
	v_mul_u32_u24_e32 v22, 0x10001, v22
	v_mul_u32_u24_e32 v13, 0x10001, v13
	v_pk_fma_f16 v11, v15, v11, v66
	v_pk_fma_f16 v15, v16, v62, v64
	;; [unrolled: 1-line block ×5, first 2 shown]
	s_wait_dscnt 0x1
	v_and_b32_e32 v10, 0xffff, v18
	v_pk_fma_f16 v14, v16, v13, v14
	v_pk_fma_f16 v16, v17, v62, v63
	v_lshrrev_b32_e32 v18, 16, v18
	v_and_b32_e32 v62, 0xffff, v19
	v_lshrrev_b32_e32 v19, 16, v19
	v_mul_u32_u24_e32 v10, 0x10001, v10
	v_pk_fma_f16 v22, v17, v22, v12
	v_mul_u32_u24_e32 v18, 0x10001, v18
	v_mul_u32_u24_e32 v62, 0x10001, v62
	v_mul_u32_u24_e32 v19, 0x10001, v19
	v_pk_fma_f16 v63, v17, v13, v11
	s_wait_dscnt 0x0
	v_pk_fma_f16 v64, v6, v10, v15
	v_pk_fma_f16 v65, v7, v10, v16
	ds_load_b128 v[10:13], v52 offset:384
	v_pk_fma_f16 v23, v6, v18, v23
	v_pk_fma_f16 v60, v6, v62, v60
	;; [unrolled: 1-line block ×3, first 2 shown]
	v_and_b32_e32 v14, 0xffff, v20
	v_dual_lshrrev_b32 v15, 16, v20 :: v_dual_lshrrev_b32 v20, 16, v21
	v_and_b32_e32 v16, 0xffff, v21
	v_pk_fma_f16 v18, v7, v18, v61
	v_pk_fma_f16 v22, v7, v62, v22
	v_mul_u32_u24_e32 v21, 0x10001, v14
	v_mul_u32_u24_e32 v61, 0x10001, v15
	;; [unrolled: 1-line block ×3, first 2 shown]
	ds_load_2addr_b64 v[14:17], v4 offset1:32
	v_mul_u32_u24_e32 v66, 0x10001, v20
	v_pk_fma_f16 v7, v7, v19, v63
	v_pk_fma_f16 v63, v8, v21, v64
	;; [unrolled: 1-line block ×7, first 2 shown]
	ds_load_b128 v[18:21], v52 offset:400
	s_wait_dscnt 0x2
	v_and_b32_e32 v64, 0xffff, v10
	v_lshrrev_b32_e32 v10, 16, v10
	v_and_b32_e32 v65, 0xffff, v11
	v_lshrrev_b32_e32 v11, 16, v11
	v_pk_fma_f16 v22, v9, v62, v22
	v_mul_u32_u24_e32 v62, 0x10001, v64
	v_mul_u32_u24_e32 v10, 0x10001, v10
	;; [unrolled: 1-line block ×4, first 2 shown]
	v_pk_fma_f16 v65, v9, v66, v7
	s_wait_dscnt 0x1
	v_pk_fma_f16 v63, v14, v62, v63
	v_pk_fma_f16 v23, v14, v10, v23
	;; [unrolled: 1-line block ×4, first 2 shown]
	v_and_b32_e32 v6, 0xffff, v12
	v_lshrrev_b32_e32 v7, 16, v12
	v_pk_fma_f16 v62, v15, v62, v8
	v_pk_fma_f16 v10, v15, v10, v61
	;; [unrolled: 1-line block ×3, first 2 shown]
	v_and_b32_e32 v22, 0xffff, v13
	v_lshrrev_b32_e32 v13, 16, v13
	v_mul_u32_u24_e32 v61, 0x10001, v6
	v_mul_u32_u24_e32 v64, 0x10001, v7
	ds_load_2addr_b64 v[6:9], v4 offset0:64 offset1:96
	v_mul_u32_u24_e32 v22, 0x10001, v22
	v_mul_u32_u24_e32 v13, 0x10001, v13
	v_pk_fma_f16 v11, v15, v11, v65
	v_pk_fma_f16 v15, v16, v61, v63
	;; [unrolled: 1-line block ×7, first 2 shown]
	s_wait_dscnt 0x1
	v_and_b32_e32 v10, 0xffff, v18
	v_lshrrev_b32_e32 v18, 16, v18
	v_and_b32_e32 v62, 0xffff, v19
	v_lshrrev_b32_e32 v19, 16, v19
	v_pk_fma_f16 v22, v17, v22, v12
	v_mul_u32_u24_e32 v10, 0x10001, v10
	v_mul_u32_u24_e32 v18, 0x10001, v18
	;; [unrolled: 1-line block ×4, first 2 shown]
	v_pk_fma_f16 v63, v17, v13, v11
	s_wait_dscnt 0x0
	v_pk_fma_f16 v64, v6, v10, v15
	v_pk_fma_f16 v65, v7, v10, v16
	ds_load_b128 v[10:13], v52 offset:416
	v_pk_fma_f16 v23, v6, v18, v23
	v_pk_fma_f16 v60, v6, v62, v60
	;; [unrolled: 1-line block ×3, first 2 shown]
	v_and_b32_e32 v14, 0xffff, v20
	v_dual_lshrrev_b32 v15, 16, v20 :: v_dual_lshrrev_b32 v20, 16, v21
	v_and_b32_e32 v16, 0xffff, v21
	v_pk_fma_f16 v18, v7, v18, v61
	v_pk_fma_f16 v22, v7, v62, v22
	v_mul_u32_u24_e32 v21, 0x10001, v14
	v_mul_u32_u24_e32 v61, 0x10001, v15
	v_mul_u32_u24_e32 v62, 0x10001, v16
	ds_load_2addr_b64 v[14:17], v4 offset0:128 offset1:160
	v_mul_u32_u24_e32 v66, 0x10001, v20
	v_pk_fma_f16 v7, v7, v19, v63
	v_pk_fma_f16 v63, v8, v21, v64
	;; [unrolled: 1-line block ×7, first 2 shown]
	ds_load_b128 v[18:21], v52 offset:432
	s_wait_dscnt 0x2
	v_and_b32_e32 v64, 0xffff, v10
	v_lshrrev_b32_e32 v10, 16, v10
	v_and_b32_e32 v65, 0xffff, v11
	v_lshrrev_b32_e32 v11, 16, v11
	v_pk_fma_f16 v22, v9, v62, v22
	v_mul_u32_u24_e32 v62, 0x10001, v64
	v_mul_u32_u24_e32 v10, 0x10001, v10
	;; [unrolled: 1-line block ×4, first 2 shown]
	v_pk_fma_f16 v65, v9, v66, v7
	s_wait_dscnt 0x1
	v_pk_fma_f16 v63, v14, v62, v63
	v_pk_fma_f16 v23, v14, v10, v23
	;; [unrolled: 1-line block ×4, first 2 shown]
	v_and_b32_e32 v6, 0xffff, v12
	v_lshrrev_b32_e32 v7, 16, v12
	v_pk_fma_f16 v62, v15, v62, v8
	v_pk_fma_f16 v10, v15, v10, v61
	;; [unrolled: 1-line block ×3, first 2 shown]
	v_and_b32_e32 v22, 0xffff, v13
	v_lshrrev_b32_e32 v13, 16, v13
	v_mul_u32_u24_e32 v61, 0x10001, v6
	v_mul_u32_u24_e32 v64, 0x10001, v7
	ds_load_2addr_b64 v[6:9], v4 offset0:192 offset1:224
	v_mul_u32_u24_e32 v4, 0x10001, v22
	v_mul_u32_u24_e32 v13, 0x10001, v13
	v_pk_fma_f16 v11, v15, v11, v65
	v_pk_fma_f16 v22, v16, v64, v23
	;; [unrolled: 1-line block ×5, first 2 shown]
	s_wait_dscnt 0x1
	v_and_b32_e32 v10, 0xffff, v18
	v_pk_fma_f16 v14, v16, v13, v14
	v_pk_fma_f16 v16, v17, v61, v62
	v_lshrrev_b32_e32 v18, 16, v18
	v_and_b32_e32 v61, 0xffff, v19
	v_lshrrev_b32_e32 v19, 16, v19
	v_mul_u32_u24_e32 v10, 0x10001, v10
	v_pk_fma_f16 v4, v17, v4, v12
	v_mul_u32_u24_e32 v18, 0x10001, v18
	v_mul_u32_u24_e32 v61, 0x10001, v61
	;; [unrolled: 1-line block ×3, first 2 shown]
	v_pk_fma_f16 v62, v17, v13, v11
	s_wait_dscnt 0x0
	v_pk_fma_f16 v63, v6, v10, v15
	v_pk_fma_f16 v64, v7, v10, v16
	ds_load_b128 v[10:13], v52 offset:448
	v_pk_fma_f16 v22, v6, v18, v22
	v_pk_fma_f16 v23, v6, v61, v23
	;; [unrolled: 1-line block ×3, first 2 shown]
	v_and_b32_e32 v14, 0xffff, v20
	v_dual_lshrrev_b32 v15, 16, v20 :: v_dual_lshrrev_b32 v20, 16, v21
	v_and_b32_e32 v16, 0xffff, v21
	v_pk_fma_f16 v18, v7, v18, v60
	v_pk_fma_f16 v4, v7, v61, v4
	v_mul_u32_u24_e32 v21, 0x10001, v14
	v_mul_u32_u24_e32 v60, 0x10001, v15
	;; [unrolled: 1-line block ×3, first 2 shown]
	ds_load_2addr_b64 v[14:17], v5 offset1:32
	v_mul_u32_u24_e32 v65, 0x10001, v20
	v_pk_fma_f16 v7, v7, v19, v62
	v_pk_fma_f16 v62, v8, v21, v63
	;; [unrolled: 1-line block ×7, first 2 shown]
	ds_load_b128 v[18:21], v52 offset:464
	s_wait_dscnt 0x2
	v_and_b32_e32 v63, 0xffff, v10
	v_lshrrev_b32_e32 v10, 16, v10
	v_and_b32_e32 v64, 0xffff, v11
	v_lshrrev_b32_e32 v11, 16, v11
	v_pk_fma_f16 v4, v9, v61, v4
	v_mul_u32_u24_e32 v61, 0x10001, v63
	v_mul_u32_u24_e32 v10, 0x10001, v10
	;; [unrolled: 1-line block ×4, first 2 shown]
	v_pk_fma_f16 v64, v9, v65, v7
	s_wait_dscnt 0x1
	v_pk_fma_f16 v62, v14, v61, v62
	v_pk_fma_f16 v22, v14, v10, v22
	v_pk_fma_f16 v23, v14, v63, v23
	v_pk_fma_f16 v14, v14, v11, v6
	v_and_b32_e32 v6, 0xffff, v12
	v_lshrrev_b32_e32 v7, 16, v12
	v_pk_fma_f16 v61, v15, v61, v8
	v_pk_fma_f16 v10, v15, v10, v60
	;; [unrolled: 1-line block ×3, first 2 shown]
	v_and_b32_e32 v12, 0xffff, v13
	v_lshrrev_b32_e32 v13, 16, v13
	v_mul_u32_u24_e32 v60, 0x10001, v6
	v_mul_u32_u24_e32 v63, 0x10001, v7
	ds_load_2addr_b64 v[6:9], v5 offset0:64 offset1:96
	v_mul_u32_u24_e32 v12, 0x10001, v12
	v_mul_u32_u24_e32 v13, 0x10001, v13
	v_pk_fma_f16 v11, v15, v11, v64
	v_pk_fma_f16 v15, v16, v60, v62
	;; [unrolled: 1-line block ×7, first 2 shown]
	s_wait_dscnt 0x1
	v_and_b32_e32 v10, 0xffff, v18
	v_lshrrev_b32_e32 v18, 16, v18
	v_and_b32_e32 v61, 0xffff, v19
	v_lshrrev_b32_e32 v19, 16, v19
	v_pk_fma_f16 v4, v17, v12, v4
	v_mul_u32_u24_e32 v10, 0x10001, v10
	v_mul_u32_u24_e32 v18, 0x10001, v18
	;; [unrolled: 1-line block ×4, first 2 shown]
	v_pk_fma_f16 v62, v17, v13, v11
	s_wait_dscnt 0x0
	v_pk_fma_f16 v63, v6, v10, v15
	v_pk_fma_f16 v64, v7, v10, v16
	ds_load_b128 v[10:13], v52 offset:480
	v_pk_fma_f16 v22, v6, v18, v22
	v_pk_fma_f16 v23, v6, v61, v23
	;; [unrolled: 1-line block ×3, first 2 shown]
	v_and_b32_e32 v14, 0xffff, v20
	v_dual_lshrrev_b32 v15, 16, v20 :: v_dual_lshrrev_b32 v20, 16, v21
	v_and_b32_e32 v16, 0xffff, v21
	v_pk_fma_f16 v18, v7, v18, v60
	v_pk_fma_f16 v4, v7, v61, v4
	v_mul_u32_u24_e32 v21, 0x10001, v14
	v_mul_u32_u24_e32 v60, 0x10001, v15
	;; [unrolled: 1-line block ×3, first 2 shown]
	ds_load_2addr_b64 v[14:17], v5 offset0:128 offset1:160
	v_mul_u32_u24_e32 v65, 0x10001, v20
	v_pk_fma_f16 v7, v7, v19, v62
	v_pk_fma_f16 v62, v8, v21, v63
	;; [unrolled: 1-line block ×7, first 2 shown]
	ds_load_b128 v[18:21], v52 offset:496
	s_wait_dscnt 0x2
	v_and_b32_e32 v63, 0xffff, v10
	v_lshrrev_b32_e32 v10, 16, v10
	v_and_b32_e32 v64, 0xffff, v11
	v_lshrrev_b32_e32 v11, 16, v11
	v_pk_fma_f16 v4, v9, v61, v4
	v_mul_u32_u24_e32 v61, 0x10001, v63
	v_mul_u32_u24_e32 v10, 0x10001, v10
	;; [unrolled: 1-line block ×4, first 2 shown]
	v_pk_fma_f16 v9, v9, v65, v7
	s_wait_dscnt 0x1
	v_pk_fma_f16 v62, v14, v61, v62
	v_pk_fma_f16 v22, v14, v10, v22
	;; [unrolled: 1-line block ×4, first 2 shown]
	v_and_b32_e32 v6, 0xffff, v12
	v_lshrrev_b32_e32 v7, 16, v12
	v_pk_fma_f16 v8, v15, v61, v8
	v_pk_fma_f16 v10, v15, v10, v60
	;; [unrolled: 1-line block ×3, first 2 shown]
	v_and_b32_e32 v60, 0xffff, v13
	v_lshrrev_b32_e32 v13, 16, v13
	v_mul_u32_u24_e32 v61, 0x10001, v6
	v_mul_u32_u24_e32 v63, 0x10001, v7
	ds_load_2addr_b64 v[4:7], v5 offset0:192 offset1:224
	v_mul_u32_u24_e32 v60, 0x10001, v60
	v_mul_u32_u24_e32 v13, 0x10001, v13
	s_wait_dscnt 0x0
	s_barrier_signal -1
	s_barrier_wait -1
	s_load_b32 s5, s[20:21], 0x4
	v_pk_fma_f16 v9, v15, v11, v9
	v_pk_fma_f16 v11, v16, v61, v62
	;; [unrolled: 1-line block ×5, first 2 shown]
	v_and_b32_e32 v16, 0xffff, v18
	v_lshrrev_b32_e32 v18, 16, v18
	v_and_b32_e32 v23, 0xffff, v19
	v_lshrrev_b32_e32 v19, 16, v19
	v_pk_fma_f16 v8, v17, v61, v8
	v_pk_fma_f16 v10, v17, v63, v10
	v_mul_u32_u24_e32 v16, 0x10001, v16
	v_mul_u32_u24_e32 v18, 0x10001, v18
	;; [unrolled: 1-line block ×4, first 2 shown]
	v_pk_fma_f16 v12, v17, v60, v12
	v_pk_fma_f16 v9, v17, v13, v9
	;; [unrolled: 1-line block ×8, first 2 shown]
	v_and_b32_e32 v14, 0xffff, v20
	v_dual_lshrrev_b32 v16, 16, v20 :: v_dual_lshrrev_b32 v18, 16, v21
	v_and_b32_e32 v17, 0xffff, v21
	v_pk_fma_f16 v20, v5, v23, v12
	s_delay_alu instid0(VALU_DEP_4) | instskip(NEXT) | instid1(VALU_DEP_4)
	v_mul_u32_u24_e32 v21, 0x10001, v14
	v_mul_u32_u24_e32 v16, 0x10001, v16
	;; [unrolled: 1-line block ×4, first 2 shown]
	v_pk_fma_f16 v5, v5, v19, v9
	s_wait_kmcnt 0x0
	s_lshl_b32 s5, s5, 6
	v_pk_fma_f16 v14, v6, v21, v11
	v_pk_fma_f16 v13, v6, v16, v13
	;; [unrolled: 1-line block ×8, first 2 shown]
	s_add_co_i32 s4, s5, s4
	s_delay_alu instid0(SALU_CYCLE_1)
	s_cmp_ge_i32 s4, s28
	s_cbranch_scc1 .LBB19_51
; %bb.50:                               ;   in Loop: Header=BB19_17 Depth=1
	v_dual_mov_b32 v21, v0 :: v_dual_mov_b32 v23, v1
	v_dual_mov_b32 v22, v2 :: v_dual_mov_b32 v20, v3
	s_branch .LBB19_17
.LBB19_51:
	v_mov_b32_e32 v4, v46
.LBB19_52:
	v_cmp_lt_i32_e32 vcc_lo, v59, v47
	s_cmp_lg_u64 s[12:13], 0
	s_cselect_b32 s3, -1, 0
	s_cmp_eq_u32 s29, 0
	v_cndmask_b32_e32 v5, v4, v59, vcc_lo
	v_cmp_lt_i32_e32 vcc_lo, v58, v47
	s_cselect_b32 s4, -1, 0
	s_delay_alu instid0(SALU_CYCLE_1) | instskip(NEXT) | instid1(VALU_DEP_2)
	s_and_b32 s3, s4, s3
	v_lshlrev_b32_e32 v5, 2, v5
	ds_bpermute_b32 v6, v5, v28
	ds_bpermute_b32 v7, v5, v29
	ds_bpermute_b32 v8, v5, v26
	ds_bpermute_b32 v9, v5, v27
	v_cndmask_b32_e32 v5, v4, v58, vcc_lo
	v_cmp_lt_i32_e32 vcc_lo, v57, v47
	s_delay_alu instid0(VALU_DEP_2)
	v_lshlrev_b32_e32 v5, 2, v5
	s_wait_dscnt 0x2
	v_pk_add_f32 v[6:7], v[28:29], v[6:7]
	s_wait_dscnt 0x0
	v_pk_add_f32 v[8:9], v[26:27], v[8:9]
	ds_bpermute_b32 v10, v5, v6
	ds_bpermute_b32 v11, v5, v7
	;; [unrolled: 1-line block ×4, first 2 shown]
	v_cndmask_b32_e32 v5, v4, v57, vcc_lo
	v_cmp_lt_i32_e32 vcc_lo, v56, v47
	s_delay_alu instid0(VALU_DEP_2)
	v_lshlrev_b32_e32 v5, 2, v5
	s_wait_dscnt 0x2
	v_pk_add_f32 v[6:7], v[6:7], v[10:11]
	s_wait_dscnt 0x0
	v_pk_add_f32 v[8:9], v[8:9], v[20:21]
	ds_bpermute_b32 v10, v5, v6
	ds_bpermute_b32 v11, v5, v7
	;; [unrolled: 1-line block ×4, first 2 shown]
	v_cndmask_b32_e32 v5, v4, v56, vcc_lo
	v_cmp_lt_i32_e32 vcc_lo, v55, v47
	s_delay_alu instid0(VALU_DEP_2) | instskip(SKIP_1) | instid1(VALU_DEP_1)
	v_dual_cndmask_b32 v4, v4, v55 :: v_dual_lshlrev_b32 v5, 2, v5
	s_and_b32 vcc_lo, exec_lo, s3
	v_lshlrev_b32_e32 v22, 2, v4
	s_wait_dscnt 0x2
	v_pk_add_f32 v[6:7], v[6:7], v[10:11]
	s_wait_dscnt 0x0
	v_pk_add_f32 v[8:9], v[8:9], v[20:21]
	ds_bpermute_b32 v10, v5, v6
	ds_bpermute_b32 v11, v5, v7
	;; [unrolled: 1-line block ×4, first 2 shown]
	s_wait_dscnt 0x2
	v_pk_add_f32 v[4:5], v[6:7], v[10:11]
	s_wait_dscnt 0x0
	v_pk_add_f32 v[8:9], v[8:9], v[20:21]
	ds_bpermute_b32 v6, v22, v4
	ds_bpermute_b32 v7, v22, v5
	;; [unrolled: 1-line block ×4, first 2 shown]
	s_wait_dscnt 0x2
	v_pk_add_f32 v[6:7], v[4:5], v[6:7]
	s_wait_dscnt 0x0
	v_pk_add_f32 v[4:5], v[8:9], v[10:11]
	v_add_nc_u32_e32 v8, s33, v24
	s_cbranch_vccz .LBB19_54
; %bb.53:
	s_delay_alu instid0(VALU_DEP_1) | instskip(NEXT) | instid1(VALU_DEP_1)
	v_dual_ashrrev_i32 v9, 31, v8 :: v_dual_max_num_f32 v29, v3, v3
	v_lshl_add_u64 v[10:11], v[8:9], 2, s[12:13]
	v_max_num_f32_e32 v9, v0, v0
	global_load_b128 v[20:23], v[10:11], off
	s_wait_xcnt 0x0
	v_dual_max_num_f32 v10, v1, v1 :: v_dual_max_num_f32 v11, v2, v2
	s_wait_loadcnt 0x0
	v_dual_max_num_f32 v24, v20, v20 :: v_dual_max_num_f32 v27, v21, v21
	v_dual_max_num_f32 v28, v22, v22 :: v_dual_max_num_f32 v30, v23, v23
	s_delay_alu instid0(VALU_DEP_2) | instskip(NEXT) | instid1(VALU_DEP_2)
	v_dual_max_num_f32 v26, v9, v24 :: v_dual_max_num_f32 v27, v10, v27
	v_dual_max_num_f32 v28, v11, v28 :: v_dual_max_num_f32 v29, v29, v30
	s_delay_alu instid0(VALU_DEP_2) | instskip(SKIP_1) | instid1(VALU_DEP_3)
	v_dual_sub_f32 v0, v0, v26 :: v_dual_sub_f32 v1, v1, v27
	v_dual_sub_f32 v9, v20, v26 :: v_dual_sub_f32 v10, v21, v27
	v_sub_f32_e32 v11, v2, v28
	s_delay_alu instid0(VALU_DEP_4) | instskip(SKIP_1) | instid1(VALU_DEP_4)
	v_dual_sub_f32 v20, v22, v28 :: v_dual_sub_f32 v21, v3, v29
	v_sub_f32_e32 v22, v23, v29
	v_dual_mul_f32 v2, 0x3fb8aa3b, v0 :: v_dual_mul_f32 v3, 0x3fb8aa3b, v9
	v_dual_mul_f32 v23, 0x3fb8aa3b, v1 :: v_dual_mul_f32 v24, 0x3fb8aa3b, v10
	s_delay_alu instid0(VALU_DEP_4) | instskip(NEXT) | instid1(VALU_DEP_3)
	v_mul_f32_e32 v31, 0x3fb8aa3b, v20
	v_fma_f32 v34, 0x3fb8aa3b, v0, -v2
	v_rndne_f32_e32 v35, v2
	s_delay_alu instid0(VALU_DEP_4)
	v_rndne_f32_e32 v39, v23
	v_mul_f32_e32 v32, 0x3fb8aa3b, v21
	v_fma_f32 v36, 0x3fb8aa3b, v9, -v3
	v_rndne_f32_e32 v37, v3
	v_fma_f32 v38, 0x3fb8aa3b, v1, -v23
	v_rndne_f32_e32 v41, v24
	v_fmac_f32_e32 v34, 0x32a5705f, v0
	v_sub_f32_e32 v2, v2, v35
	v_sub_f32_e32 v23, v23, v39
	v_rndne_f32_e32 v49, v32
	v_fma_f32 v40, 0x3fb8aa3b, v10, -v24
	v_rndne_f32_e32 v47, v31
	v_fma_f32 v48, 0x3fb8aa3b, v21, -v32
	v_fmac_f32_e32 v36, 0x32a5705f, v9
	v_sub_f32_e32 v3, v3, v37
	v_sub_f32_e32 v24, v24, v41
	v_dual_sub_f32 v32, v32, v49 :: v_dual_add_f32 v2, v2, v34
	v_dual_mul_f32 v30, 0x3fb8aa3b, v11 :: v_dual_mul_f32 v33, 0x3fb8aa3b, v22
	v_fma_f32 v46, 0x3fb8aa3b, v20, -v31
	v_dual_sub_f32 v31, v31, v47 :: v_dual_fmac_f32 v40, 0x32a5705f, v10
	v_add_f32_e32 v3, v3, v36
	v_exp_f32_e32 v2, v2
	v_fma_f32 v44, 0x3fb8aa3b, v11, -v30
	v_rndne_f32_e32 v45, v30
	v_rndne_f32_e32 v51, v33
	v_cvt_i32_f32_e32 v35, v35
	v_fmac_f32_e32 v38, 0x32a5705f, v1
	v_exp_f32_e32 v3, v3
	v_fma_f32 v50, 0x3fb8aa3b, v22, -v33
	v_cvt_i32_f32_e32 v37, v37
	v_dual_sub_f32 v30, v30, v45 :: v_dual_add_f32 v24, v24, v40
	v_sub_f32_e32 v33, v33, v51
	v_dual_fmac_f32 v44, 0x32a5705f, v11 :: v_dual_add_f32 v23, v23, v38
	v_ldexp_f32 v2, v2, v35
	v_cmp_ngt_f32_e32 vcc_lo, 0xc2ce8ed0, v0
	v_ldexp_f32 v3, v3, v37
	s_delay_alu instid0(VALU_DEP_4)
	v_add_f32_e32 v30, v30, v44
	v_exp_f32_e32 v23, v23
	v_cvt_i32_f32_e32 v39, v39
	v_cndmask_b32_e32 v2, 0, v2, vcc_lo
	v_cmp_ngt_f32_e32 vcc_lo, 0xc2ce8ed0, v9
	v_fmac_f32_e32 v50, 0x32a5705f, v22
	v_exp_f32_e32 v24, v24
	v_cvt_i32_f32_e32 v41, v41
	v_ldexp_f32 v23, v23, v39
	v_dual_cndmask_b32 v3, 0, v3 :: v_dual_fmac_f32 v46, 0x32a5705f, v20
	v_dual_add_f32 v33, v33, v50 :: v_dual_fmac_f32 v48, 0x32a5705f, v21
	v_cmp_ngt_f32_e32 vcc_lo, 0xc2ce8ed0, v1
	v_exp_f32_e32 v30, v30
	s_delay_alu instid0(VALU_DEP_3)
	v_add_f32_e32 v31, v31, v46
	v_cvt_i32_f32_e32 v45, v45
	v_dual_add_f32 v32, v32, v48 :: v_dual_cndmask_b32 v23, 0, v23
	v_ldexp_f32 v24, v24, v41
	v_cmp_ngt_f32_e32 vcc_lo, 0xc2ce8ed0, v10
	v_exp_f32_e32 v31, v31
	v_cvt_i32_f32_e32 v47, v47
	v_ldexp_f32 v30, v30, v45
	v_exp_f32_e32 v32, v32
	v_cndmask_b32_e32 v24, 0, v24, vcc_lo
	v_cmp_ngt_f32_e32 vcc_lo, 0xc2ce8ed0, v11
	v_cvt_i32_f32_e32 v49, v49
	v_ldexp_f32 v31, v31, v47
	v_exp_f32_e32 v33, v33
	v_cvt_i32_f32_e32 v51, v51
	v_cndmask_b32_e32 v30, 0, v30, vcc_lo
	v_cmp_ngt_f32_e32 vcc_lo, 0xc2ce8ed0, v20
	v_ldexp_f32 v32, v32, v49
	s_delay_alu instid0(TRANS32_DEP_1) | instid1(VALU_DEP_4)
	v_ldexp_f32 v33, v33, v51
	v_cndmask_b32_e32 v31, 0, v31, vcc_lo
	v_cmp_ngt_f32_e32 vcc_lo, 0xc2ce8ed0, v21
	s_delay_alu instid0(VALU_DEP_4)
	v_cndmask_b32_e32 v32, 0, v32, vcc_lo
	v_cmp_ngt_f32_e32 vcc_lo, 0xc2ce8ed0, v22
	v_cndmask_b32_e32 v33, 0, v33, vcc_lo
	v_cmp_nlt_f32_e32 vcc_lo, 0x42b17218, v0
	v_cndmask_b32_e32 v0, 0x7f800000, v2, vcc_lo
	v_cmp_nlt_f32_e32 vcc_lo, 0x42b17218, v9
	s_delay_alu instid0(VALU_DEP_2) | instskip(SKIP_2) | instid1(VALU_DEP_3)
	v_cvt_f16_f32_e32 v9, v0
	v_cndmask_b32_e32 v2, 0x7f800000, v3, vcc_lo
	v_cmp_nlt_f32_e32 vcc_lo, 0x42b17218, v1
	v_and_b32_e32 v9, 0xffff, v9
	v_cndmask_b32_e32 v1, 0x7f800000, v23, vcc_lo
	v_cmp_nlt_f32_e32 vcc_lo, 0x42b17218, v10
	v_cndmask_b32_e32 v3, 0x7f800000, v24, vcc_lo
	v_cmp_nlt_f32_e32 vcc_lo, 0x42b17218, v11
	s_delay_alu instid0(VALU_DEP_2) | instskip(SKIP_3) | instid1(VALU_DEP_3)
	v_pk_fma_f32 v[6:7], v[6:7], v[0:1], v[2:3]
	v_cndmask_b32_e32 v10, 0x7f800000, v30, vcc_lo
	v_cmp_nlt_f32_e32 vcc_lo, 0x42b17218, v20
	v_mul_u32_u24_e32 v3, 0x10001, v9
	v_cvt_f16_f32_e32 v23, v10
	v_cndmask_b32_e32 v20, 0x7f800000, v31, vcc_lo
	v_cmp_nlt_f32_e32 vcc_lo, 0x42b17218, v21
	s_delay_alu instid0(VALU_DEP_4)
	v_pk_mul_f16 v14, v14, v3
	v_pk_mul_f16 v19, v19, v3
	v_cndmask_b32_e32 v11, 0x7f800000, v32, vcc_lo
	v_cmp_nlt_f32_e32 vcc_lo, 0x42b17218, v22
	v_cvt_f16_f32_e32 v22, v1
	v_and_b32_e32 v1, 0xffff, v23
	s_delay_alu instid0(VALU_DEP_4) | instskip(SKIP_1) | instid1(VALU_DEP_4)
	v_cvt_f16_f32_e32 v24, v11
	v_cndmask_b32_e32 v21, 0x7f800000, v33, vcc_lo
	v_and_b32_e32 v0, 0xffff, v22
	s_delay_alu instid0(VALU_DEP_4) | instskip(NEXT) | instid1(VALU_DEP_4)
	v_mul_u32_u24_e32 v1, 0x10001, v1
	v_and_b32_e32 v2, 0xffff, v24
	s_delay_alu instid0(VALU_DEP_4) | instskip(NEXT) | instid1(VALU_DEP_4)
	v_pk_fma_f32 v[4:5], v[4:5], v[10:11], v[20:21]
	v_mul_u32_u24_e32 v0, 0x10001, v0
	s_delay_alu instid0(VALU_DEP_4) | instskip(SKIP_2) | instid1(VALU_DEP_4)
	v_pk_mul_f16 v12, v12, v1
	v_pk_mul_f16 v17, v17, v1
	v_mul_u32_u24_e32 v2, 0x10001, v2
	v_pk_mul_f16 v13, v13, v0
	v_pk_mul_f16 v18, v18, v0
	s_delay_alu instid0(VALU_DEP_3)
	v_pk_mul_f16 v15, v15, v2
	v_pk_mul_f16 v16, v16, v2
	v_mov_b64_e32 v[0:1], v[26:27]
	v_mov_b64_e32 v[2:3], v[28:29]
.LBB19_54:
	s_mov_b32 s3, exec_lo
	v_cmpx_gt_i32_e64 s22, v42
	s_cbranch_execz .LBB19_71
; %bb.55:
	s_load_b32 s0, s[0:1], 0xd4
	v_mov_b32_e32 v10, 1.0
	s_wait_kmcnt 0x0
	s_cmp_lg_u32 s0, 1
	s_cselect_b32 s1, -1, 0
	s_cmp_eq_u32 s0, 1
	s_cselect_b32 s3, -1, 0
	s_and_b32 vcc_lo, exec_lo, s1
	s_cbranch_vccnz .LBB19_57
; %bb.56:
	v_div_scale_f32 v9, null, v6, v6, 1.0
	s_delay_alu instid0(VALU_DEP_1) | instskip(SKIP_1) | instid1(TRANS32_DEP_1)
	v_rcp_f32_e32 v10, v9
	v_nop
	v_fma_f32 v11, -v9, v10, 1.0
	s_delay_alu instid0(VALU_DEP_1) | instskip(SKIP_1) | instid1(VALU_DEP_1)
	v_fmac_f32_e32 v10, v11, v10
	v_div_scale_f32 v11, vcc_lo, 1.0, v6, 1.0
	v_mul_f32_e32 v20, v11, v10
	s_delay_alu instid0(VALU_DEP_1) | instskip(NEXT) | instid1(VALU_DEP_1)
	v_fma_f32 v21, -v9, v20, v11
	v_fmac_f32_e32 v20, v21, v10
	s_delay_alu instid0(VALU_DEP_1) | instskip(NEXT) | instid1(VALU_DEP_1)
	v_fma_f32 v9, -v9, v20, v11
	v_div_fmas_f32 v9, v9, v10, v20
	s_delay_alu instid0(VALU_DEP_1)
	v_div_fixup_f32 v10, v9, v6, 1.0
.LBB19_57:
	v_mad_u32 v9, s2, s22, v42
	v_lshrrev_b32_e32 v11, 16, v19
	v_cvt_f32_f16_e32 v20, v14
	v_cvt_f32_f16_e32 v26, v19
	v_cmp_eq_u32_e32 vcc_lo, 0, v25
	v_mov_b32_e32 v23, 0
	v_cvt_f32_f16_e32 v27, v11
	s_and_b32 s1, vcc_lo, s1
	v_mad_u32 v8, v9, s23, v8
	s_delay_alu instid0(VALU_DEP_1) | instskip(SKIP_1) | instid1(VALU_DEP_1)
	v_mad_u32 v9, s0, v8, s29
	v_lshrrev_b32_e32 v8, 16, v14
	v_cvt_f32_f16_e32 v21, v8
	s_delay_alu instid0(VALU_DEP_1) | instskip(NEXT) | instid1(VALU_DEP_4)
	v_pk_mul_f32 v[20:21], v[10:11], v[20:21] op_sel_hi:[0,1]
	v_lshl_add_u32 v22, v9, 7, v43
	s_delay_alu instid0(VALU_DEP_1)
	v_lshl_add_u64 v[24:25], v[22:23], 2, s[16:17]
	v_pk_mul_f32 v[22:23], v[10:11], v[26:27] op_sel_hi:[0,1]
	global_store_b128 v[24:25], v[20:23], off
	s_wait_xcnt 0x0
	s_and_saveexec_b32 s2, s1
	s_cbranch_execz .LBB19_59
; %bb.58:
	v_dual_mov_b32 v10, v0 :: v_dual_mov_b32 v11, v6
	global_store_b64 v9, v[10:11], s[18:19] scale_offset
.LBB19_59:
	s_wait_xcnt 0x0
	s_or_b32 exec_lo, exec_lo, s2
	v_cndmask_b32_e64 v8, 0, 1, s3
	v_mov_b32_e32 v0, 1.0
	s_and_not1_b32 vcc_lo, exec_lo, s3
	s_cbranch_vccnz .LBB19_61
; %bb.60:
	v_div_scale_f32 v0, null, v7, v7, 1.0
	s_delay_alu instid0(VALU_DEP_1) | instskip(SKIP_1) | instid1(TRANS32_DEP_1)
	v_rcp_f32_e32 v6, v0
	v_nop
	v_fma_f32 v10, -v0, v6, 1.0
	s_delay_alu instid0(VALU_DEP_1) | instskip(SKIP_1) | instid1(VALU_DEP_1)
	v_fmac_f32_e32 v6, v10, v6
	v_div_scale_f32 v10, vcc_lo, 1.0, v7, 1.0
	v_mul_f32_e32 v11, v10, v6
	s_delay_alu instid0(VALU_DEP_1) | instskip(NEXT) | instid1(VALU_DEP_1)
	v_fma_f32 v14, -v0, v11, v10
	v_fmac_f32_e32 v11, v14, v6
	s_delay_alu instid0(VALU_DEP_1) | instskip(NEXT) | instid1(VALU_DEP_1)
	v_fma_f32 v0, -v0, v11, v10
	v_div_fmas_f32 v0, v0, v6, v11
	s_delay_alu instid0(VALU_DEP_1)
	v_div_fixup_f32 v0, v0, v7, 1.0
.LBB19_61:
	v_dual_add_nc_u32 v9, s0, v9 :: v_dual_mov_b32 v11, 0
	v_dual_lshrrev_b32 v6, 16, v13 :: v_dual_lshrrev_b32 v14, 16, v18
	v_cvt_f32_f16_e32 v20, v13
	s_delay_alu instid0(VALU_DEP_3) | instskip(SKIP_1) | instid1(VALU_DEP_4)
	v_lshl_add_u32 v10, v9, 7, v43
	v_cvt_f32_f16_e32 v22, v18
	v_cvt_f32_f16_e32 v21, v6
	;; [unrolled: 1-line block ×3, first 2 shown]
	s_delay_alu instid0(VALU_DEP_4) | instskip(NEXT) | instid1(VALU_DEP_3)
	v_lshl_add_u64 v[10:11], v[10:11], 2, s[16:17]
	v_pk_mul_f32 v[18:19], v[0:1], v[20:21] op_sel_hi:[0,1]
	s_delay_alu instid0(VALU_DEP_3)
	v_pk_mul_f32 v[20:21], v[0:1], v[22:23] op_sel_hi:[0,1]
	global_store_b128 v[10:11], v[18:21], off
	s_wait_xcnt 0x0
	s_and_saveexec_b32 s2, s1
	s_cbranch_execz .LBB19_63
; %bb.62:
	v_mov_b32_e32 v6, v1
	global_store_b64 v9, v[6:7], s[18:19] scale_offset
.LBB19_63:
	s_wait_xcnt 0x0
	s_or_b32 exec_lo, exec_lo, s2
	v_cmp_ne_u32_e32 vcc_lo, 1, v8
	v_mov_b32_e32 v0, 1.0
	s_cbranch_vccnz .LBB19_65
; %bb.64:
	v_div_scale_f32 v0, null, v4, v4, 1.0
	s_delay_alu instid0(VALU_DEP_1) | instskip(SKIP_1) | instid1(TRANS32_DEP_1)
	v_rcp_f32_e32 v1, v0
	v_nop
	v_fma_f32 v6, -v0, v1, 1.0
	s_delay_alu instid0(VALU_DEP_1) | instskip(SKIP_1) | instid1(VALU_DEP_1)
	v_fmac_f32_e32 v1, v6, v1
	v_div_scale_f32 v6, vcc_lo, 1.0, v4, 1.0
	v_mul_f32_e32 v7, v6, v1
	s_delay_alu instid0(VALU_DEP_1) | instskip(NEXT) | instid1(VALU_DEP_1)
	v_fma_f32 v10, -v0, v7, v6
	v_fmac_f32_e32 v7, v10, v1
	s_delay_alu instid0(VALU_DEP_1) | instskip(NEXT) | instid1(VALU_DEP_1)
	v_fma_f32 v0, -v0, v7, v6
	v_div_fmas_f32 v0, v0, v1, v7
	s_delay_alu instid0(VALU_DEP_1)
	v_div_fixup_f32 v0, v0, v4, 1.0
.LBB19_65:
	v_dual_add_nc_u32 v1, s0, v9 :: v_dual_lshrrev_b32 v9, 16, v12
	v_dual_mov_b32 v7, 0 :: v_dual_lshrrev_b32 v13, 16, v17
	v_cvt_f32_f16_e32 v10, v12
	s_delay_alu instid0(VALU_DEP_3) | instskip(NEXT) | instid1(VALU_DEP_4)
	v_lshl_add_u32 v6, v1, 7, v43
	v_cvt_f32_f16_e32 v11, v9
	v_cvt_f32_f16_e32 v12, v17
	;; [unrolled: 1-line block ×3, first 2 shown]
	s_delay_alu instid0(VALU_DEP_4) | instskip(NEXT) | instid1(VALU_DEP_4)
	v_lshl_add_u64 v[6:7], v[6:7], 2, s[16:17]
	v_pk_mul_f32 v[10:11], v[0:1], v[10:11] op_sel_hi:[0,1]
	s_delay_alu instid0(VALU_DEP_3)
	v_pk_mul_f32 v[12:13], v[0:1], v[12:13] op_sel_hi:[0,1]
	global_store_b128 v[6:7], v[10:13], off
	s_wait_xcnt 0x0
	s_and_saveexec_b32 s2, s1
	s_cbranch_execz .LBB19_67
; %bb.66:
	v_dual_mov_b32 v6, v2 :: v_dual_mov_b32 v7, v4
	global_store_b64 v1, v[6:7], s[18:19] scale_offset
.LBB19_67:
	s_wait_xcnt 0x0
	s_or_b32 exec_lo, exec_lo, s2
	v_cmp_ne_u32_e32 vcc_lo, 1, v8
	v_mov_b32_e32 v0, 1.0
	s_cbranch_vccnz .LBB19_69
; %bb.68:
	v_div_scale_f32 v0, null, v5, v5, 1.0
	s_delay_alu instid0(VALU_DEP_1) | instskip(SKIP_1) | instid1(TRANS32_DEP_1)
	v_rcp_f32_e32 v2, v0
	v_nop
	v_fma_f32 v4, -v0, v2, 1.0
	s_delay_alu instid0(VALU_DEP_1) | instskip(SKIP_1) | instid1(VALU_DEP_1)
	v_fmac_f32_e32 v2, v4, v2
	v_div_scale_f32 v4, vcc_lo, 1.0, v5, 1.0
	v_mul_f32_e32 v6, v4, v2
	s_delay_alu instid0(VALU_DEP_1) | instskip(NEXT) | instid1(VALU_DEP_1)
	v_fma_f32 v7, -v0, v6, v4
	v_fmac_f32_e32 v6, v7, v2
	s_delay_alu instid0(VALU_DEP_1) | instskip(NEXT) | instid1(VALU_DEP_1)
	v_fma_f32 v0, -v0, v6, v4
	v_div_fmas_f32 v0, v0, v2, v6
	s_delay_alu instid0(VALU_DEP_1)
	v_div_fixup_f32 v0, v0, v5, 1.0
.LBB19_69:
	v_dual_add_nc_u32 v1, s0, v1 :: v_dual_lshrrev_b32 v2, 16, v15
	v_dual_mov_b32 v7, 0 :: v_dual_lshrrev_b32 v4, 16, v16
	v_cvt_f32_f16_e32 v8, v15
	s_delay_alu instid0(VALU_DEP_3) | instskip(NEXT) | instid1(VALU_DEP_4)
	v_lshl_add_u32 v6, v1, 7, v43
	v_cvt_f32_f16_e32 v9, v2
	v_cvt_f32_f16_e32 v10, v16
	;; [unrolled: 1-line block ×3, first 2 shown]
	s_delay_alu instid0(VALU_DEP_4) | instskip(NEXT) | instid1(VALU_DEP_4)
	v_lshl_add_u64 v[12:13], v[6:7], 2, s[16:17]
	v_pk_mul_f32 v[6:7], v[0:1], v[8:9] op_sel_hi:[0,1]
	s_delay_alu instid0(VALU_DEP_3)
	v_pk_mul_f32 v[8:9], v[0:1], v[10:11] op_sel_hi:[0,1]
	global_store_b128 v[12:13], v[6:9], off
	s_wait_xcnt 0x0
	s_and_b32 exec_lo, exec_lo, s1
	s_cbranch_execz .LBB19_71
; %bb.70:
	v_mov_b32_e32 v4, v3
	global_store_b64 v1, v[4:5], s[18:19] scale_offset
.LBB19_71:
	s_sendmsg sendmsg(MSG_DEALLOC_VGPRS)
	s_endpgm
	.section	.rodata,"a",@progbits
	.p2align	6, 0x0
	.amdhsa_kernel _ZL15flash_attn_tileILi192ELi128ELi2ELi16ELb1EEvPKcS1_S1_S1_S1_PKiPfP15HIP_vector_typeIfLj2EEffffjfiS5_IjLj3EEiiiiiiiiiiiliiliiiiil
		.amdhsa_group_segment_fixed_size 25600
		.amdhsa_private_segment_fixed_size 0
		.amdhsa_kernarg_size 464
		.amdhsa_user_sgpr_count 2
		.amdhsa_user_sgpr_dispatch_ptr 0
		.amdhsa_user_sgpr_queue_ptr 0
		.amdhsa_user_sgpr_kernarg_segment_ptr 1
		.amdhsa_user_sgpr_dispatch_id 0
		.amdhsa_user_sgpr_kernarg_preload_length 0
		.amdhsa_user_sgpr_kernarg_preload_offset 0
		.amdhsa_user_sgpr_private_segment_size 0
		.amdhsa_wavefront_size32 1
		.amdhsa_uses_dynamic_stack 0
		.amdhsa_enable_private_segment 0
		.amdhsa_system_sgpr_workgroup_id_x 1
		.amdhsa_system_sgpr_workgroup_id_y 1
		.amdhsa_system_sgpr_workgroup_id_z 1
		.amdhsa_system_sgpr_workgroup_info 0
		.amdhsa_system_vgpr_workitem_id 1
		.amdhsa_next_free_vgpr 132
		.amdhsa_next_free_sgpr 43
		.amdhsa_named_barrier_count 0
		.amdhsa_reserve_vcc 1
		.amdhsa_float_round_mode_32 0
		.amdhsa_float_round_mode_16_64 0
		.amdhsa_float_denorm_mode_32 3
		.amdhsa_float_denorm_mode_16_64 3
		.amdhsa_fp16_overflow 0
		.amdhsa_memory_ordered 1
		.amdhsa_forward_progress 1
		.amdhsa_inst_pref_size 159
		.amdhsa_round_robin_scheduling 0
		.amdhsa_exception_fp_ieee_invalid_op 0
		.amdhsa_exception_fp_denorm_src 0
		.amdhsa_exception_fp_ieee_div_zero 0
		.amdhsa_exception_fp_ieee_overflow 0
		.amdhsa_exception_fp_ieee_underflow 0
		.amdhsa_exception_fp_ieee_inexact 0
		.amdhsa_exception_int_div_zero 0
	.end_amdhsa_kernel
	.section	.text._ZL15flash_attn_tileILi192ELi128ELi2ELi16ELb1EEvPKcS1_S1_S1_S1_PKiPfP15HIP_vector_typeIfLj2EEffffjfiS5_IjLj3EEiiiiiiiiiiiliiliiiiil,"axG",@progbits,_ZL15flash_attn_tileILi192ELi128ELi2ELi16ELb1EEvPKcS1_S1_S1_S1_PKiPfP15HIP_vector_typeIfLj2EEffffjfiS5_IjLj3EEiiiiiiiiiiiliiliiiiil,comdat
.Lfunc_end19:
	.size	_ZL15flash_attn_tileILi192ELi128ELi2ELi16ELb1EEvPKcS1_S1_S1_S1_PKiPfP15HIP_vector_typeIfLj2EEffffjfiS5_IjLj3EEiiiiiiiiiiiliiliiiiil, .Lfunc_end19-_ZL15flash_attn_tileILi192ELi128ELi2ELi16ELb1EEvPKcS1_S1_S1_S1_PKiPfP15HIP_vector_typeIfLj2EEffffjfiS5_IjLj3EEiiiiiiiiiiiliiliiiiil
                                        ; -- End function
	.set _ZL15flash_attn_tileILi192ELi128ELi2ELi16ELb1EEvPKcS1_S1_S1_S1_PKiPfP15HIP_vector_typeIfLj2EEffffjfiS5_IjLj3EEiiiiiiiiiiiliiliiiiil.num_vgpr, 132
	.set _ZL15flash_attn_tileILi192ELi128ELi2ELi16ELb1EEvPKcS1_S1_S1_S1_PKiPfP15HIP_vector_typeIfLj2EEffffjfiS5_IjLj3EEiiiiiiiiiiiliiliiiiil.num_agpr, 0
	.set _ZL15flash_attn_tileILi192ELi128ELi2ELi16ELb1EEvPKcS1_S1_S1_S1_PKiPfP15HIP_vector_typeIfLj2EEffffjfiS5_IjLj3EEiiiiiiiiiiiliiliiiiil.numbered_sgpr, 43
	.set _ZL15flash_attn_tileILi192ELi128ELi2ELi16ELb1EEvPKcS1_S1_S1_S1_PKiPfP15HIP_vector_typeIfLj2EEffffjfiS5_IjLj3EEiiiiiiiiiiiliiliiiiil.num_named_barrier, 0
	.set _ZL15flash_attn_tileILi192ELi128ELi2ELi16ELb1EEvPKcS1_S1_S1_S1_PKiPfP15HIP_vector_typeIfLj2EEffffjfiS5_IjLj3EEiiiiiiiiiiiliiliiiiil.private_seg_size, 0
	.set _ZL15flash_attn_tileILi192ELi128ELi2ELi16ELb1EEvPKcS1_S1_S1_S1_PKiPfP15HIP_vector_typeIfLj2EEffffjfiS5_IjLj3EEiiiiiiiiiiiliiliiiiil.uses_vcc, 1
	.set _ZL15flash_attn_tileILi192ELi128ELi2ELi16ELb1EEvPKcS1_S1_S1_S1_PKiPfP15HIP_vector_typeIfLj2EEffffjfiS5_IjLj3EEiiiiiiiiiiiliiliiiiil.uses_flat_scratch, 0
	.set _ZL15flash_attn_tileILi192ELi128ELi2ELi16ELb1EEvPKcS1_S1_S1_S1_PKiPfP15HIP_vector_typeIfLj2EEffffjfiS5_IjLj3EEiiiiiiiiiiiliiliiiiil.has_dyn_sized_stack, 0
	.set _ZL15flash_attn_tileILi192ELi128ELi2ELi16ELb1EEvPKcS1_S1_S1_S1_PKiPfP15HIP_vector_typeIfLj2EEffffjfiS5_IjLj3EEiiiiiiiiiiiliiliiiiil.has_recursion, 0
	.set _ZL15flash_attn_tileILi192ELi128ELi2ELi16ELb1EEvPKcS1_S1_S1_S1_PKiPfP15HIP_vector_typeIfLj2EEffffjfiS5_IjLj3EEiiiiiiiiiiiliiliiiiil.has_indirect_call, 0
	.section	.AMDGPU.csdata,"",@progbits
; Kernel info:
; codeLenInByte = 20236
; TotalNumSgprs: 45
; NumVgprs: 132
; ScratchSize: 0
; MemoryBound: 0
; FloatMode: 240
; IeeeMode: 1
; LDSByteSize: 25600 bytes/workgroup (compile time only)
; SGPRBlocks: 0
; VGPRBlocks: 8
; NumSGPRsForWavesPerEU: 45
; NumVGPRsForWavesPerEU: 132
; NamedBarCnt: 0
; Occupancy: 7
; WaveLimiterHint : 1
; COMPUTE_PGM_RSRC2:SCRATCH_EN: 0
; COMPUTE_PGM_RSRC2:USER_SGPR: 2
; COMPUTE_PGM_RSRC2:TRAP_HANDLER: 0
; COMPUTE_PGM_RSRC2:TGID_X_EN: 1
; COMPUTE_PGM_RSRC2:TGID_Y_EN: 1
; COMPUTE_PGM_RSRC2:TGID_Z_EN: 1
; COMPUTE_PGM_RSRC2:TIDIG_COMP_CNT: 1
	.section	.text._ZL15flash_attn_tileILi192ELi128ELi1ELi16ELb1EEvPKcS1_S1_S1_S1_PKiPfP15HIP_vector_typeIfLj2EEffffjfiS5_IjLj3EEiiiiiiiiiiiliiliiiiil,"axG",@progbits,_ZL15flash_attn_tileILi192ELi128ELi1ELi16ELb1EEvPKcS1_S1_S1_S1_PKiPfP15HIP_vector_typeIfLj2EEffffjfiS5_IjLj3EEiiiiiiiiiiiliiliiiiil,comdat
	.globl	_ZL15flash_attn_tileILi192ELi128ELi1ELi16ELb1EEvPKcS1_S1_S1_S1_PKiPfP15HIP_vector_typeIfLj2EEffffjfiS5_IjLj3EEiiiiiiiiiiiliiliiiiil ; -- Begin function _ZL15flash_attn_tileILi192ELi128ELi1ELi16ELb1EEvPKcS1_S1_S1_S1_PKiPfP15HIP_vector_typeIfLj2EEffffjfiS5_IjLj3EEiiiiiiiiiiiliiliiiiil
	.p2align	8
	.type	_ZL15flash_attn_tileILi192ELi128ELi1ELi16ELb1EEvPKcS1_S1_S1_S1_PKiPfP15HIP_vector_typeIfLj2EEffffjfiS5_IjLj3EEiiiiiiiiiiiliiliiiiil,@function
_ZL15flash_attn_tileILi192ELi128ELi1ELi16ELb1EEvPKcS1_S1_S1_S1_PKiPfP15HIP_vector_typeIfLj2EEffffjfiS5_IjLj3EEiiiiiiiiiiiliiliiiiil: ; @_ZL15flash_attn_tileILi192ELi128ELi1ELi16ELb1EEvPKcS1_S1_S1_S1_PKiPfP15HIP_vector_typeIfLj2EEffffjfiS5_IjLj3EEiiiiiiiiiiiliiliiiiil
; %bb.0:
	s_clause 0x1
	s_load_b128 s[20:23], s[0:1], 0x5c
	s_load_b64 s[28:29], s[0:1], 0x80
	s_bfe_u32 s5, ttmp6, 0x40014
	s_lshr_b32 s4, ttmp7, 16
	s_add_co_i32 s5, s5, 1
	s_bfe_u32 s6, ttmp6, 0x40008
	s_mul_i32 s5, s4, s5
	s_getreg_b32 s24, hwreg(HW_REG_IB_STS2, 6, 4)
	s_add_co_i32 s6, s6, s5
	s_load_b64 s[36:37], s[0:1], 0xb8
	s_mov_b32 s35, 0
	s_mov_b64 s[30:31], 0
	s_wait_kmcnt 0x0
	s_ashr_i32 s2, s23, 31
	s_delay_alu instid0(SALU_CYCLE_1) | instskip(NEXT) | instid1(SALU_CYCLE_1)
	s_lshr_b32 s2, s2, 28
	s_add_co_i32 s2, s23, s2
	s_delay_alu instid0(SALU_CYCLE_1) | instskip(NEXT) | instid1(SALU_CYCLE_1)
	s_ashr_i32 s2, s2, 4
	s_cvt_f32_u32 s3, s2
	s_sub_co_i32 s7, 0, s2
	s_delay_alu instid0(SALU_CYCLE_2) | instskip(SKIP_1) | instid1(TRANS32_DEP_1)
	v_rcp_iflag_f32_e32 v1, s3
	v_nop
	v_readfirstlane_b32 s3, v1
	s_mul_f32 s3, s3, 0x4f7ffffe
	s_delay_alu instid0(SALU_CYCLE_3) | instskip(NEXT) | instid1(SALU_CYCLE_3)
	s_cvt_u32_f32 s3, s3
	s_mul_i32 s7, s7, s3
	s_delay_alu instid0(SALU_CYCLE_1) | instskip(NEXT) | instid1(SALU_CYCLE_1)
	s_mul_hi_u32 s7, s3, s7
	s_add_co_i32 s3, s3, s7
	s_cmp_eq_u32 s24, 0
	s_cselect_b32 s4, s4, s6
	s_delay_alu instid0(SALU_CYCLE_1) | instskip(NEXT) | instid1(SALU_CYCLE_1)
	s_mul_hi_u32 s3, s4, s3
	s_mul_i32 s5, s3, s2
	s_add_co_i32 s6, s3, 1
	s_sub_co_i32 s5, s4, s5
	s_delay_alu instid0(SALU_CYCLE_1)
	s_sub_co_i32 s7, s5, s2
	s_cmp_ge_u32 s5, s2
	s_cselect_b32 s3, s6, s3
	s_cselect_b32 s5, s7, s5
	s_add_co_i32 s6, s3, 1
	s_cmp_ge_u32 s5, s2
	s_cselect_b32 s2, s6, s3
	s_abs_i32 s3, s29
	s_lshl_b32 s4, s4, 4
	s_cvt_f32_u32 s5, s3
	s_sub_co_i32 s6, 0, s3
	s_mul_i32 s7, s2, s23
	s_abs_i32 s8, s23
	v_rcp_iflag_f32_e32 v1, s5
	s_sub_co_i32 s33, s4, s7
	v_nop
	s_delay_alu instid0(TRANS32_DEP_1) | instskip(SKIP_1) | instid1(SALU_CYCLE_3)
	v_readfirstlane_b32 s5, v1
	s_mul_f32 s5, s5, 0x4f7ffffe
	s_cvt_u32_f32 s5, s5
	s_delay_alu instid0(SALU_CYCLE_3) | instskip(NEXT) | instid1(SALU_CYCLE_1)
	s_mul_i32 s6, s6, s5
	s_mul_hi_u32 s6, s5, s6
	s_delay_alu instid0(SALU_CYCLE_1) | instskip(NEXT) | instid1(SALU_CYCLE_1)
	s_add_co_i32 s5, s5, s6
	s_mul_hi_u32 s4, s8, s5
	s_xor_b32 s5, s23, s29
	s_mul_i32 s6, s4, s3
	s_ashr_i32 s25, s5, 31
	s_sub_co_i32 s5, s8, s6
	s_add_co_i32 s6, s4, 1
	s_sub_co_i32 s7, s5, s3
	s_cmp_ge_u32 s5, s3
	s_cselect_b32 s4, s6, s4
	s_cselect_b32 s5, s7, s5
	s_add_co_i32 s6, s4, 1
	s_cmp_ge_u32 s5, s3
	s_cselect_b32 s3, s6, s4
	s_load_b512 s[4:19], s[0:1], 0x0
	s_xor_b32 s3, s3, s25
	s_delay_alu instid0(SALU_CYCLE_1) | instskip(NEXT) | instid1(SALU_CYCLE_1)
	s_sub_co_i32 s3, s3, s25
	s_abs_i32 s29, s3
	s_delay_alu instid0(SALU_CYCLE_1) | instskip(NEXT) | instid1(SALU_CYCLE_3)
	s_cvt_f32_u32 s25, s29
	v_rcp_iflag_f32_e32 v1, s25
	v_nop
	s_delay_alu instid0(TRANS32_DEP_1)
	v_readfirstlane_b32 s25, v1
	s_wait_kmcnt 0x0
	s_cmp_eq_u64 s[10:11], 0
	s_cbranch_scc1 .LBB20_2
; %bb.1:
	s_abs_i32 s30, s36
	s_abs_i32 s31, s2
	s_cvt_f32_u32 s26, s30
	s_sub_co_i32 s27, 0, s30
	s_delay_alu instid0(SALU_CYCLE_2) | instskip(SKIP_1) | instid1(TRANS32_DEP_1)
	v_rcp_iflag_f32_e32 v1, s26
	v_nop
	v_readfirstlane_b32 s26, v1
	s_mul_f32 s26, s26, 0x4f7ffffe
	s_delay_alu instid0(SALU_CYCLE_3) | instskip(NEXT) | instid1(SALU_CYCLE_3)
	s_cvt_u32_f32 s26, s26
	s_mul_i32 s27, s27, s26
	s_delay_alu instid0(SALU_CYCLE_1) | instskip(NEXT) | instid1(SALU_CYCLE_1)
	s_mul_hi_u32 s27, s26, s27
	s_add_co_i32 s26, s26, s27
	s_delay_alu instid0(SALU_CYCLE_1) | instskip(SKIP_2) | instid1(SALU_CYCLE_1)
	s_mul_hi_u32 s34, s31, s26
	s_load_b64 s[26:27], s[0:1], 0xc8
	s_mul_i32 s34, s34, s30
	s_sub_co_i32 s31, s31, s34
	s_ashr_i32 s34, s2, 31
	s_sub_co_i32 s36, s31, s30
	s_cmp_ge_u32 s31, s30
	s_cselect_b32 s31, s36, s31
	s_delay_alu instid0(SALU_CYCLE_1) | instskip(SKIP_2) | instid1(SALU_CYCLE_1)
	s_sub_co_i32 s36, s31, s30
	s_cmp_ge_u32 s31, s30
	s_cselect_b32 s30, s36, s31
	s_xor_b32 s30, s30, s34
	s_delay_alu instid0(SALU_CYCLE_1) | instskip(NEXT) | instid1(SALU_CYCLE_1)
	s_sub_co_i32 s30, s30, s34
	s_ashr_i32 s31, s30, 31
	s_wait_kmcnt 0x0
	s_mul_u64 s[26:27], s[26:27], s[30:31]
	s_delay_alu instid0(SALU_CYCLE_1)
	s_add_nc_u64 s[30:31], s[10:11], s[26:27]
.LBB20_2:
	s_bfe_u32 s10, ttmp6, 0x4000c
	v_dual_lshrrev_b32 v1, 10, v0 :: v_dual_mov_b32 v3, 0
	s_add_co_i32 s10, s10, 1
	s_and_b32 s11, ttmp6, 15
	s_mul_i32 s10, ttmp9, s10
	s_delay_alu instid0(VALU_DEP_1)
	v_bfe_u32 v1, v1, 3, 7
	s_add_co_i32 s11, s11, s10
	s_cmp_eq_u32 s24, 0
	v_bfe_u32 v6, v0, 10, 10
	s_cselect_b32 s26, ttmp9, s11
	s_load_b96 s[40:42], s[0:1], 0x70
	v_dual_mov_b32 v17, v3 :: v_dual_add_nc_u32 v26, s26, v1
	s_delay_alu instid0(VALU_DEP_2) | instskip(SKIP_1) | instid1(VALU_DEP_3)
	v_lshlrev_b32_e32 v7, 1, v6
	v_mul_u32_u24_e32 v29, 0x300, v6
	v_mul_hi_u32 v1, s20, v26
	s_delay_alu instid0(VALU_DEP_1) | instskip(SKIP_3) | instid1(VALU_DEP_1)
	v_dual_add_nc_u32 v1, v26, v1 :: v_dual_bitop2_b32 v16, 14, v7 bitop3:0x40
	s_wait_kmcnt 0x0
	s_mul_i32 s20, s33, s41
	s_ashr_i32 s11, s41, 31
	v_lshrrev_b32_e32 v1, s21, v1
	s_mov_b32 s10, s41
	s_ashr_i32 s41, s40, 31
	s_lshr_b64 s[10:11], s[10:11], 2
	s_lshr_b64 s[38:39], s[40:41], 2
	v_mul_lo_u32 v1, v1, s22
	s_ashr_i32 s21, s20, 31
	v_mul_u64_e32 v[8:9], s[10:11], v[16:17]
	v_and_b32_e32 v17, 0x3ff, v0
	s_delay_alu instid0(VALU_DEP_1) | instskip(SKIP_2) | instid1(VALU_DEP_1)
	v_lshlrev_b32_e32 v0, 4, v17
	v_cmp_gt_u32_e32 vcc_lo, 16, v17
	v_dual_mov_b32 v1, v3 :: v_dual_sub_nc_u32 v2, v26, v1
	v_mul_u64_e32 v[4:5], s[38:39], v[2:3]
	s_mul_i32 s38, s2, s42
	s_delay_alu instid0(SALU_CYCLE_1) | instskip(NEXT) | instid1(SALU_CYCLE_1)
	s_ashr_i32 s39, s38, 31
	s_add_nc_u64 s[4:5], s[4:5], s[38:39]
	s_delay_alu instid0(SALU_CYCLE_1)
	s_add_nc_u64 s[4:5], s[4:5], s[20:21]
	s_delay_alu instid0(VALU_DEP_1) | instid1(SALU_CYCLE_1)
	v_lshl_add_u64 v[4:5], v[4:5], 2, s[4:5]
	s_load_b32 s4, s[0:1], 0x40
	s_delay_alu instid0(VALU_DEP_1) | instskip(NEXT) | instid1(VALU_DEP_1)
	v_add_nc_u64_e32 v[0:1], v[4:5], v[0:1]
	v_lshl_add_u64 v[4:5], v[8:9], 2, v[0:1]
	global_load_b128 v[8:11], v[4:5], off
	s_wait_kmcnt 0x0
	s_mov_b32 s5, s4
	s_wait_loadcnt 0x0
	v_fma_mixlo_f16 v12, s4, v8, 0
	v_mov_b32_e32 v8, v11
	s_delay_alu instid0(VALU_DEP_1) | instskip(NEXT) | instid1(VALU_DEP_1)
	v_pk_mul_f32 v[8:9], s[4:5], v[8:9] op_sel_hi:[0,1]
	v_cvt_pk_f16_f32 v8, v8, v9
	v_fma_mixlo_f16 v9, s4, v10, 0
	v_and_b32_e32 v10, 0xffff, v12
	v_lshlrev_b32_e32 v28, 3, v17
	s_delay_alu instid0(VALU_DEP_4) | instskip(NEXT) | instid1(VALU_DEP_4)
	v_and_b32_e32 v11, 0xffff0000, v8
	v_and_b32_e32 v9, 0xffff, v9
	s_delay_alu instid0(VALU_DEP_2) | instskip(NEXT) | instid1(VALU_DEP_4)
	v_dual_lshlrev_b32 v8, 16, v8 :: v_dual_bitop2_b32 v10, v11, v10 bitop3:0x54
	v_mad_u32_u24 v11, 0x300, v6, v28
	s_delay_alu instid0(VALU_DEP_2) | instskip(NEXT) | instid1(VALU_DEP_3)
	v_or3_b32 v9, v8, v9, 0
	v_or3_b32 v8, 0, 0, v10
	ds_store_b64 v11, v[8:9]
	s_and_saveexec_b32 s20, vcc_lo
	s_cbranch_execz .LBB20_4
; %bb.3:
	global_load_b128 v[8:11], v[4:5], off offset:512
	s_wait_xcnt 0x0
	v_mov_b64_e32 v[4:5], s[4:5]
	s_wait_loadcnt 0x0
	v_fma_mixlo_f16 v12, s4, v8, 0
	v_mov_b32_e32 v8, v11
	s_delay_alu instid0(VALU_DEP_1) | instskip(NEXT) | instid1(VALU_DEP_3)
	v_pk_mul_f32 v[4:5], v[4:5], v[8:9]
	v_and_b32_e32 v8, 0xffff, v12
	s_delay_alu instid0(VALU_DEP_2) | instskip(SKIP_1) | instid1(VALU_DEP_2)
	v_cvt_pk_f16_f32 v4, v4, v5
	v_fma_mixlo_f16 v5, s4, v10, 0
	v_and_b32_e32 v9, 0xffff0000, v4
	s_delay_alu instid0(VALU_DEP_2) | instskip(SKIP_1) | instid1(VALU_DEP_3)
	v_and_b32_e32 v5, 0xffff, v5
	v_lshlrev_b32_e32 v4, 16, v4
	v_or_b32_e32 v8, v9, v8
	s_delay_alu instid0(VALU_DEP_2) | instskip(NEXT) | instid1(VALU_DEP_2)
	v_or3_b32 v5, v4, v5, 0
	v_or3_b32 v4, 0, 0, v8
	v_add_nc_u32_e32 v8, v28, v29
	ds_store_b64 v8, v[4:5] offset:256
.LBB20_4:
	s_or_b32 exec_lo, exec_lo, s20
	v_bitop3_b32 v4, v7, 15, 1 bitop3:0xc8
	v_mov_b32_e32 v5, v3
	s_delay_alu instid0(VALU_DEP_1) | instskip(NEXT) | instid1(VALU_DEP_1)
	v_mul_u64_e32 v[4:5], s[10:11], v[4:5]
	v_lshl_add_u64 v[0:1], v[4:5], 2, v[0:1]
	v_mov_b64_e32 v[4:5], s[4:5]
	global_load_b128 v[8:11], v[0:1], off
	s_wait_loadcnt 0x0
	v_fma_mixlo_f16 v3, s4, v8, 0
	v_mov_b32_e32 v8, v11
	s_delay_alu instid0(VALU_DEP_1) | instskip(NEXT) | instid1(VALU_DEP_3)
	v_pk_mul_f32 v[4:5], v[4:5], v[8:9]
	v_and_b32_e32 v8, 0xffff, v3
	s_delay_alu instid0(VALU_DEP_2) | instskip(SKIP_2) | instid1(VALU_DEP_3)
	v_cvt_pk_f16_f32 v4, v4, v5
	v_fma_mixlo_f16 v5, s4, v10, 0
	v_or_b32_e32 v3, 1, v7
	v_and_b32_e32 v9, 0xffff0000, v4
	s_delay_alu instid0(VALU_DEP_3) | instskip(SKIP_1) | instid1(VALU_DEP_3)
	v_and_b32_e32 v5, 0xffff, v5
	v_lshlrev_b32_e32 v4, 16, v4
	v_or_b32_e32 v8, v9, v8
	v_mad_u32_u24 v9, 0x180, v3, v28
	s_delay_alu instid0(VALU_DEP_3) | instskip(NEXT) | instid1(VALU_DEP_3)
	v_or3_b32 v5, v4, v5, 0
	v_or3_b32 v4, 0, 0, v8
	ds_store_b64 v9, v[4:5]
	s_and_saveexec_b32 s10, vcc_lo
	s_cbranch_execz .LBB20_6
; %bb.5:
	global_load_b128 v[8:11], v[0:1], off offset:512
	s_wait_xcnt 0x0
	v_mov_b64_e32 v[0:1], s[4:5]
	v_mul_u32_u24_e32 v3, 0x180, v3
	s_delay_alu instid0(VALU_DEP_1) | instskip(SKIP_3) | instid1(VALU_DEP_2)
	v_add_nc_u32_e32 v3, v28, v3
	s_wait_loadcnt 0x0
	v_fma_mixlo_f16 v4, s4, v8, 0
	v_mov_b32_e32 v8, v11
	v_and_b32_e32 v4, 0xffff, v4
	s_delay_alu instid0(VALU_DEP_2) | instskip(NEXT) | instid1(VALU_DEP_1)
	v_pk_mul_f32 v[0:1], v[0:1], v[8:9]
	v_cvt_pk_f16_f32 v0, v0, v1
	v_fma_mixlo_f16 v1, s4, v10, 0
	s_delay_alu instid0(VALU_DEP_2) | instskip(NEXT) | instid1(VALU_DEP_2)
	v_and_b32_e32 v5, 0xffff0000, v0
	v_and_b32_e32 v1, 0xffff, v1
	v_lshlrev_b32_e32 v0, 16, v0
	s_delay_alu instid0(VALU_DEP_3) | instskip(NEXT) | instid1(VALU_DEP_2)
	v_or_b32_e32 v4, v5, v4
	v_or3_b32 v1, v0, v1, 0
	s_delay_alu instid0(VALU_DEP_2)
	v_or3_b32 v0, 0, 0, v4
	ds_store_b64 v3, v[0:1] offset:256
.LBB20_6:
	s_or_b32 exec_lo, exec_lo, s10
	s_cmp_eq_u64 s[14:15], 0
	s_wait_dscnt 0x0
	s_barrier_signal -1
	s_barrier_wait -1
	s_cbranch_scc1 .LBB20_8
; %bb.7:
	s_load_b32 s4, s[0:1], 0xd0
	s_wait_kmcnt 0x0
	s_mul_i32 s4, s4, s2
	s_delay_alu instid0(SALU_CYCLE_1)
	s_add_co_i32 s4, s4, s26
	s_load_b32 s28, s[14:15], s4 offset:0x0 scale_offset
.LBB20_8:
	s_wait_xcnt 0x0
	s_bfe_u32 s4, ttmp6, 0x40010
	s_and_b32 s5, ttmp7, 0xffff
	s_add_co_i32 s4, s4, 1
	s_bfe_u32 s10, ttmp6, 0x40004
	s_mul_i32 s4, s5, s4
	v_mbcnt_lo_u32_b32 v30, -1, 0
	s_add_co_i32 s10, s10, s4
	s_cmp_eq_u32 s24, 0
	s_cselect_b32 s20, s5, s10
	s_mov_b32 s5, 0
	s_lshl_b32 s4, s20, 5
	s_wait_kmcnt 0x0
	s_cmp_lt_i32 s4, s28
	s_cbranch_scc1 .LBB20_11
; %bb.9:
	v_mbcnt_lo_u32_b32 v0, -1, 0
	s_delay_alu instid0(VALU_DEP_1)
	v_dual_mov_b32 v31, 32 :: v_dual_bitop2_b32 v43, 16, v0 bitop3:0x14
	v_xor_b32_e32 v39, 8, v0
	v_xor_b32_e32 v40, 4, v0
	;; [unrolled: 1-line block ×3, first 2 shown]
	v_dual_lshlrev_b32 v27, 2, v17 :: v_dual_bitop2_b32 v42, 1, v0 bitop3:0x14
	s_and_not1_b32 vcc_lo, exec_lo, s5
	s_cbranch_vccz .LBB20_12
; %bb.10:
	v_dual_mov_b32 v19, 0 :: v_dual_mov_b32 v37, 0
	v_dual_mov_b32 v25, 0xfeffffff :: v_dual_mov_b32 v24, 0xfeffffff
	s_delay_alu instid0(VALU_DEP_2)
	v_dual_mov_b32 v38, 0 :: v_dual_mov_b32 v18, v19
	v_dual_mov_b32 v8, 0 :: v_dual_mov_b32 v9, 0
	s_branch .LBB20_24
.LBB20_11:
                                        ; implicit-def: $vgpr0
                                        ; implicit-def: $vgpr31
                                        ; implicit-def: $vgpr43
                                        ; implicit-def: $vgpr39
                                        ; implicit-def: $vgpr40
                                        ; implicit-def: $vgpr41
                                        ; implicit-def: $vgpr42
	v_lshlrev_b32_e32 v27, 2, v17
.LBB20_12:
	s_mul_f32 s5, s25, 0x4f7ffffe
	s_clause 0x1
	s_load_b128 s[24:27], s[0:1], 0x98
	s_load_b64 s[14:15], s[0:1], 0x8c
	s_sub_co_i32 s10, 0, s29
	s_ashr_i32 s38, s3, 31
	s_cvt_u32_f32 s5, s5
	s_abs_i32 s34, s33
	s_mov_b32 s11, s35
	v_dual_lshrrev_b32 v0, 3, v17 :: v_dual_lshrrev_b32 v1, 4, v17
	s_mul_i32 s10, s10, s5
	s_ashr_i32 s21, s33, 31
	s_mul_hi_u32 s3, s5, s10
	s_delay_alu instid0(VALU_DEP_1)
	v_lshl_add_u32 v3, v6, 2, v0
	s_add_co_i32 s10, s5, s3
	s_ashr_i32 s39, s37, 1
	s_mul_u64 s[10:11], s[34:35], s[10:11]
	s_ashr_i32 s3, s2, 31
	s_mul_i32 s5, s11, s29
	s_xor_b32 s21, s21, s38
	s_sub_co_i32 s5, s34, s5
	s_wait_kmcnt 0x0
	s_ashr_i32 s10, s26, 2
	s_ashr_i32 s14, s14, 2
	s_add_co_i32 s26, s11, 1
	s_sub_co_i32 s34, s5, s29
	s_cmp_ge_u32 s5, s29
	v_mul_lo_u32 v0, s14, v3
	s_cselect_b32 s11, s26, s11
	s_load_b64 s[36:37], s[0:1], 0xa8
	s_cselect_b32 s5, s34, s5
	s_add_co_i32 s26, s11, 1
	s_cmp_ge_u32 s5, s29
	v_add_nc_u32_e32 v7, v1, v7
	s_cselect_b32 s5, s26, s11
	s_mul_u64 s[24:25], s[24:25], s[2:3]
	s_xor_b32 s5, s5, s21
	v_dual_mov_b32 v9, 0 :: v_dual_bitop2_b32 v5, 28, v27 bitop3:0x40
	s_sub_co_i32 s5, s5, s21
	v_ashrrev_i32_e32 v1, 31, v0
	s_mul_i32 s34, s5, s15
	v_mul_lo_u32 v4, s10, v7
	s_add_nc_u64 s[6:7], s[6:7], s[24:25]
	s_ashr_i32 s35, s34, 31
	v_mul_u32_u24_e32 v3, 0x90, v3
	s_add_nc_u64 s[6:7], s[6:7], s[34:35]
	v_dual_lshlrev_b32 v8, 2, v5 :: v_dual_bitop2_b32 v5, 60, v27 bitop3:0x40
	v_lshl_add_u64 v[0:1], v[0:1], 2, s[6:7]
	s_load_b32 s21, s[0:1], 0x54
	s_wait_kmcnt 0x0
	s_mul_u64 s[24:25], s[36:37], s[2:3]
	s_mul_i32 s26, s5, s27
	v_add3_u32 v32, v3, v8, 0x1800
	v_add_nc_u64_e32 v[20:21], v[0:1], v[8:9]
	v_dual_lshlrev_b32 v8, 2, v5 :: v_dual_ashrrev_i32 v5, 31, v4
	s_add_nc_u64 s[6:7], s[8:9], s[24:25]
	s_ashr_i32 s27, s26, 31
	v_mad_u32 v34, v2, s39, v17
	s_add_nc_u64 s[6:7], s[6:7], s[26:27]
	v_lshl_or_b32 v3, v7, 8, v8
	v_lshl_add_u64 v[0:1], v[4:5], 2, s[6:7]
	s_movk_i32 s3, 0x1800
	v_lshl_add_u32 v35, v6, 7, 0x2a00
	v_mad_u32_u24 v33, 0x90, v17, s3
	v_dual_mov_b32 v31, 32 :: v_dual_add_nc_u32 v36, 0x1800, v3
	v_add_nc_u64_e32 v[22:23], v[0:1], v[8:9]
	v_dual_mov_b32 v3, 0xfeffffff :: v_dual_mov_b32 v8, v9
	v_dual_mov_b32 v38, v9 :: v_dual_mov_b32 v37, v9
	v_dual_mov_b32 v2, 0xfeffffff :: v_dual_mov_b32 v19, v9
	v_mov_b32_e32 v18, v9
	s_ashr_i32 s15, s14, 31
	s_ashr_i32 s11, s10, 31
	s_add_nc_u64 s[6:7], s[0:1], 0xd0
	s_mov_b32 s3, 0xbbbac73d
.LBB20_13:                              ; =>This Inner Loop Header: Depth=1
	s_ashr_i32 s5, s4, 31
	v_mov_b32_e32 v14, 0
	s_mul_u64 s[8:9], s[4:5], s[14:15]
	s_delay_alu instid0(SALU_CYCLE_1)
	v_lshl_add_u64 v[0:1], s[8:9], 2, v[20:21]
	global_load_b128 v[4:7], v[0:1], off
	s_wait_loadcnt 0x0
	ds_store_b128 v32, v[4:7]
	s_wait_dscnt 0x0
	s_barrier_signal -1
	s_barrier_wait -1
	ds_load_b128 v[10:13], v33
	ds_load_b128 v[40:43], v29
	ds_load_b128 v[44:47], v29 offset:384
	v_mov_b32_e32 v4, 0
	s_wait_dscnt 0x1
	;;#ASMSTART
	v_dot2_f32_f16 v4, v10, v40, v4
	;;#ASMEND
	;;#ASMSTART
	v_dot2_f32_f16 v4, v11, v41, v4
	;;#ASMEND
	;;#ASMSTART
	v_dot2_f32_f16 v4, v12, v42, v4
	;;#ASMEND
	;;#ASMSTART
	v_dot2_f32_f16 v4, v13, v43, v4
	;;#ASMEND
	s_wait_dscnt 0x0
	;;#ASMSTART
	v_dot2_f32_f16 v14, v10, v44, v14
	;;#ASMEND
	;;#ASMSTART
	v_dot2_f32_f16 v14, v11, v45, v14
	;;#ASMEND
	;;#ASMSTART
	v_dot2_f32_f16 v14, v12, v46, v14
	;;#ASMEND
	;;#ASMSTART
	v_dot2_f32_f16 v14, v13, v47, v14
	;;#ASMEND
	ds_load_b128 v[10:13], v33 offset:16
	ds_load_b128 v[40:43], v29 offset:16
	ds_load_b128 v[44:47], v29 offset:400
	s_wait_dscnt 0x1
	;;#ASMSTART
	v_dot2_f32_f16 v4, v10, v40, v4
	;;#ASMEND
	;;#ASMSTART
	v_dot2_f32_f16 v4, v11, v41, v4
	;;#ASMEND
	;;#ASMSTART
	v_dot2_f32_f16 v4, v12, v42, v4
	;;#ASMEND
	;;#ASMSTART
	v_dot2_f32_f16 v4, v13, v43, v4
	;;#ASMEND
	s_wait_dscnt 0x0
	;;#ASMSTART
	v_dot2_f32_f16 v14, v10, v44, v14
	;;#ASMEND
	;;#ASMSTART
	v_dot2_f32_f16 v14, v11, v45, v14
	;;#ASMEND
	;;#ASMSTART
	v_dot2_f32_f16 v14, v12, v46, v14
	;;#ASMEND
	;;#ASMSTART
	v_dot2_f32_f16 v14, v13, v47, v14
	;;#ASMEND
	ds_load_b128 v[10:13], v33 offset:32
	ds_load_b128 v[40:43], v29 offset:32
	ds_load_b128 v[44:47], v29 offset:416
	;; [unrolled: 29-line block ×7, first 2 shown]
	s_wait_dscnt 0x1
	;;#ASMSTART
	v_dot2_f32_f16 v4, v10, v40, v4
	;;#ASMEND
	;;#ASMSTART
	v_dot2_f32_f16 v4, v11, v41, v4
	;;#ASMEND
	;; [unrolled: 3-line block ×4, first 2 shown]
	s_wait_dscnt 0x0
	;;#ASMSTART
	v_dot2_f32_f16 v14, v10, v44, v14
	;;#ASMEND
	;;#ASMSTART
	v_dot2_f32_f16 v14, v11, v45, v14
	;;#ASMEND
	;; [unrolled: 3-line block ×4, first 2 shown]
	s_barrier_signal -1
	s_barrier_wait -1
	global_load_b128 v[10:13], v[0:1], off offset:128
	s_wait_loadcnt 0x0
	ds_store_b128 v32, v[10:13]
	s_wait_dscnt 0x0
	s_barrier_signal -1
	s_barrier_wait -1
	ds_load_b128 v[10:13], v33
	ds_load_b128 v[40:43], v29 offset:128
	ds_load_b128 v[44:47], v29 offset:512
	s_wait_dscnt 0x1
	;;#ASMSTART
	v_dot2_f32_f16 v4, v10, v40, v4
	;;#ASMEND
	;;#ASMSTART
	v_dot2_f32_f16 v4, v11, v41, v4
	;;#ASMEND
	;;#ASMSTART
	v_dot2_f32_f16 v4, v12, v42, v4
	;;#ASMEND
	;;#ASMSTART
	v_dot2_f32_f16 v4, v13, v43, v4
	;;#ASMEND
	s_wait_dscnt 0x0
	;;#ASMSTART
	v_dot2_f32_f16 v14, v10, v44, v14
	;;#ASMEND
	;;#ASMSTART
	v_dot2_f32_f16 v14, v11, v45, v14
	;;#ASMEND
	;;#ASMSTART
	v_dot2_f32_f16 v14, v12, v46, v14
	;;#ASMEND
	;;#ASMSTART
	v_dot2_f32_f16 v14, v13, v47, v14
	;;#ASMEND
	ds_load_b128 v[10:13], v33 offset:16
	ds_load_b128 v[40:43], v29 offset:144
	ds_load_b128 v[44:47], v29 offset:528
	s_wait_dscnt 0x1
	;;#ASMSTART
	v_dot2_f32_f16 v4, v10, v40, v4
	;;#ASMEND
	;;#ASMSTART
	v_dot2_f32_f16 v4, v11, v41, v4
	;;#ASMEND
	;;#ASMSTART
	v_dot2_f32_f16 v4, v12, v42, v4
	;;#ASMEND
	;;#ASMSTART
	v_dot2_f32_f16 v4, v13, v43, v4
	;;#ASMEND
	s_wait_dscnt 0x0
	;;#ASMSTART
	v_dot2_f32_f16 v14, v10, v44, v14
	;;#ASMEND
	;;#ASMSTART
	v_dot2_f32_f16 v14, v11, v45, v14
	;;#ASMEND
	;;#ASMSTART
	v_dot2_f32_f16 v14, v12, v46, v14
	;;#ASMEND
	;;#ASMSTART
	v_dot2_f32_f16 v14, v13, v47, v14
	;;#ASMEND
	ds_load_b128 v[10:13], v33 offset:32
	;; [unrolled: 29-line block ×7, first 2 shown]
	ds_load_b128 v[40:43], v29 offset:240
	ds_load_b128 v[44:47], v29 offset:624
	s_wait_dscnt 0x1
	;;#ASMSTART
	v_dot2_f32_f16 v4, v10, v40, v4
	;;#ASMEND
	;;#ASMSTART
	v_dot2_f32_f16 v4, v11, v41, v4
	;;#ASMEND
	;; [unrolled: 3-line block ×4, first 2 shown]
	s_wait_dscnt 0x0
	;;#ASMSTART
	v_dot2_f32_f16 v14, v10, v44, v14
	;;#ASMEND
	;;#ASMSTART
	v_dot2_f32_f16 v14, v11, v45, v14
	;;#ASMEND
	;; [unrolled: 3-line block ×4, first 2 shown]
	s_barrier_signal -1
	s_barrier_wait -1
	global_load_b128 v[10:13], v[0:1], off offset:256
	s_wait_xcnt 0x0
	v_add_nc_u32_e32 v0, s4, v34
                                        ; implicit-def: $vgpr1
	s_wait_loadcnt 0x0
	ds_store_b128 v32, v[10:13]
	s_wait_dscnt 0x0
	s_barrier_signal -1
	s_barrier_wait -1
	ds_load_b128 v[10:13], v33
	ds_load_b128 v[40:43], v29 offset:256
	ds_load_b128 v[44:47], v29 offset:640
	s_wait_dscnt 0x1
	;;#ASMSTART
	v_dot2_f32_f16 v4, v10, v40, v4
	;;#ASMEND
	;;#ASMSTART
	v_dot2_f32_f16 v4, v11, v41, v4
	;;#ASMEND
	;;#ASMSTART
	v_dot2_f32_f16 v4, v12, v42, v4
	;;#ASMEND
	;;#ASMSTART
	v_dot2_f32_f16 v4, v13, v43, v4
	;;#ASMEND
	s_wait_dscnt 0x0
	;;#ASMSTART
	v_dot2_f32_f16 v14, v10, v44, v14
	;;#ASMEND
	;;#ASMSTART
	v_dot2_f32_f16 v14, v11, v45, v14
	;;#ASMEND
	;;#ASMSTART
	v_dot2_f32_f16 v14, v12, v46, v14
	;;#ASMEND
	;;#ASMSTART
	v_dot2_f32_f16 v14, v13, v47, v14
	;;#ASMEND
	ds_load_b128 v[10:13], v33 offset:16
	ds_load_b128 v[40:43], v29 offset:272
	ds_load_b128 v[44:47], v29 offset:656
	s_wait_dscnt 0x1
	;;#ASMSTART
	v_dot2_f32_f16 v4, v10, v40, v4
	;;#ASMEND
	;;#ASMSTART
	v_dot2_f32_f16 v4, v11, v41, v4
	;;#ASMEND
	;;#ASMSTART
	v_dot2_f32_f16 v4, v12, v42, v4
	;;#ASMEND
	;;#ASMSTART
	v_dot2_f32_f16 v4, v13, v43, v4
	;;#ASMEND
	s_wait_dscnt 0x0
	;;#ASMSTART
	v_dot2_f32_f16 v14, v10, v44, v14
	;;#ASMEND
	;;#ASMSTART
	v_dot2_f32_f16 v14, v11, v45, v14
	;;#ASMEND
	;;#ASMSTART
	v_dot2_f32_f16 v14, v12, v46, v14
	;;#ASMEND
	;;#ASMSTART
	v_dot2_f32_f16 v14, v13, v47, v14
	;;#ASMEND
	ds_load_b128 v[10:13], v33 offset:32
	;; [unrolled: 29-line block ×7, first 2 shown]
	ds_load_b128 v[40:43], v29 offset:368
	ds_load_b128 v[44:47], v29 offset:752
	s_wait_dscnt 0x1
	;;#ASMSTART
	v_dot2_f32_f16 v4, v10, v40, v4
	;;#ASMEND
	;;#ASMSTART
	v_dot2_f32_f16 v4, v11, v41, v4
	;;#ASMEND
	;; [unrolled: 3-line block ×4, first 2 shown]
	s_wait_dscnt 0x0
	;;#ASMSTART
	v_dot2_f32_f16 v14, v10, v44, v14
	;;#ASMEND
	;;#ASMSTART
	v_dot2_f32_f16 v14, v11, v45, v14
	;;#ASMEND
	;; [unrolled: 3-line block ×4, first 2 shown]
	global_load_u16 v0, v0, s[30:31] scale_offset
	v_cmp_ngt_f32_e64 s8, 0x3f200000, |v4|
	s_wait_xcnt 0x0
	s_and_saveexec_b32 s9, s8
	s_delay_alu instid0(SALU_CYCLE_1)
	s_xor_b32 s8, exec_lo, s9
	s_cbranch_execz .LBB20_15
; %bb.14:                               ;   in Loop: Header=BB20_13 Depth=1
	v_add_f32_e64 v1, |v4|, |v4|
	s_delay_alu instid0(VALU_DEP_1) | instskip(SKIP_1) | instid1(VALU_DEP_2)
	v_mul_f32_e32 v5, 0x3fb8aa3b, v1
	v_cmp_ngt_f32_e32 vcc_lo, 0xc2ce8ed0, v1
	v_rndne_f32_e32 v6, v5
	v_fma_f32 v7, 0x3fb8aa3b, v1, -v5
	s_delay_alu instid0(VALU_DEP_2) | instskip(NEXT) | instid1(VALU_DEP_2)
	v_sub_f32_e32 v5, v5, v6
	v_fmac_f32_e32 v7, 0x32a5705f, v1
	v_cvt_i32_f32_e32 v6, v6
	s_delay_alu instid0(VALU_DEP_2) | instskip(NEXT) | instid1(VALU_DEP_1)
	v_add_f32_e32 v5, v5, v7
	v_exp_f32_e32 v5, v5
	v_nop
	s_delay_alu instid0(TRANS32_DEP_1) | instskip(NEXT) | instid1(VALU_DEP_1)
	v_ldexp_f32 v5, v5, v6
	v_cndmask_b32_e32 v5, 0, v5, vcc_lo
	v_cmp_nlt_f32_e32 vcc_lo, 0x42b17218, v1
	s_delay_alu instid0(VALU_DEP_2) | instskip(NEXT) | instid1(VALU_DEP_1)
	v_cndmask_b32_e32 v1, 0x7f800000, v5, vcc_lo
	v_add_f32_e32 v1, 1.0, v1
	s_delay_alu instid0(VALU_DEP_1) | instskip(SKIP_1) | instid1(TRANS32_DEP_1)
	v_rcp_f32_e32 v1, v1
	v_nop
	v_fma_f32 v1, v1, -2.0, 1.0
.LBB20_15:                              ;   in Loop: Header=BB20_13 Depth=1
	s_and_not1_saveexec_b32 s8, s8
	s_cbranch_execz .LBB20_17
; %bb.16:                               ;   in Loop: Header=BB20_13 Depth=1
	v_mul_f32_e32 v1, v4, v4
	s_delay_alu instid0(VALU_DEP_1) | instskip(NEXT) | instid1(VALU_DEP_1)
	v_fmaak_f32 v5, s3, v1, 0x3ca908c9
	v_fmaak_f32 v5, v1, v5, 0xbd5c1c4e
	s_delay_alu instid0(VALU_DEP_1) | instskip(NEXT) | instid1(VALU_DEP_1)
	v_fmaak_f32 v5, v1, v5, 0x3e088382
	v_fmaak_f32 v5, v1, v5, 0xbeaaaa99
	s_delay_alu instid0(VALU_DEP_1) | instskip(NEXT) | instid1(VALU_DEP_1)
	v_mul_f32_e64 v5, |v4|, v5
	v_fma_f32 v1, v1, v5, |v4|
.LBB20_17:                              ;   in Loop: Header=BB20_13 Depth=1
	s_or_b32 exec_lo, exec_lo, s8
	s_delay_alu instid0(VALU_DEP_1)
	v_bfi_b32 v1, 0x7fffffff, v1, v4
	v_dual_max_num_f32 v6, v3, v3 :: v_dual_bitop2_b32 v43, 16, v30 bitop3:0x14
	v_cmp_ngt_f32_e64 s8, 0x3f200000, |v14|
	v_xor_b32_e32 v40, 4, v30
	s_wait_loadcnt 0x0
	v_fma_mix_f32 v1, s21, v1, v0 op_sel_hi:[0,0,1]
	v_cmp_gt_i32_e32 vcc_lo, 32, v43
	v_xor_b32_e32 v41, 2, v30
	v_xor_b32_e32 v42, 1, v30
	s_delay_alu instid0(VALU_DEP_4) | instskip(NEXT) | instid1(VALU_DEP_1)
	v_dual_add_f32 v5, 0x40051340, v1 :: v_dual_cndmask_b32 v4, v30, v43
	v_dual_max_num_f32 v6, v6, v5 :: v_dual_lshlrev_b32 v4, 2, v4
	ds_bpermute_b32 v5, v4, v6
	s_wait_dscnt 0x0
	v_dual_max_num_f32 v10, v5, v5 :: v_dual_bitop2_b32 v39, 8, v30 bitop3:0x14
	s_delay_alu instid0(VALU_DEP_1) | instskip(SKIP_2) | instid1(VALU_DEP_2)
	v_cmp_gt_i32_e32 vcc_lo, 32, v39
	v_cndmask_b32_e32 v7, v30, v39, vcc_lo
	v_cmp_gt_i32_e32 vcc_lo, 32, v40
	v_dual_lshlrev_b32 v5, 2, v7 :: v_dual_max_num_f32 v7, v6, v10
	v_cndmask_b32_e32 v10, v30, v40, vcc_lo
	v_cmp_gt_i32_e32 vcc_lo, 32, v41
	ds_bpermute_b32 v6, v5, v7
	s_wait_dscnt 0x0
	v_max_num_f32_e32 v11, v6, v6
	s_delay_alu instid0(VALU_DEP_1)
	v_dual_lshlrev_b32 v6, 2, v10 :: v_dual_max_num_f32 v10, v7, v11
	v_cndmask_b32_e32 v11, v30, v41, vcc_lo
	v_cmp_gt_i32_e32 vcc_lo, 32, v42
	ds_bpermute_b32 v7, v6, v10
	s_wait_dscnt 0x0
	v_max_num_f32_e32 v12, v7, v7
	s_delay_alu instid0(VALU_DEP_1) | instskip(SKIP_3) | instid1(VALU_DEP_1)
	v_dual_max_num_f32 v10, v10, v12 :: v_dual_lshlrev_b32 v7, 2, v11
	ds_bpermute_b32 v11, v7, v10
	s_wait_dscnt 0x0
	v_dual_cndmask_b32 v12, v30, v42 :: v_dual_max_num_f32 v13, v11, v11
	v_dual_max_num_f32 v10, v10, v13 :: v_dual_lshlrev_b32 v11, 2, v12
                                        ; implicit-def: $vgpr13
	ds_bpermute_b32 v12, v11, v10
	s_and_saveexec_b32 s9, s8
	s_delay_alu instid0(SALU_CYCLE_1)
	s_xor_b32 s8, exec_lo, s9
	s_cbranch_execz .LBB20_19
; %bb.18:                               ;   in Loop: Header=BB20_13 Depth=1
	v_add_f32_e64 v13, |v14|, |v14|
	s_delay_alu instid0(VALU_DEP_1) | instskip(SKIP_1) | instid1(VALU_DEP_2)
	v_mul_f32_e32 v15, 0x3fb8aa3b, v13
	v_cmp_ngt_f32_e32 vcc_lo, 0xc2ce8ed0, v13
	v_rndne_f32_e32 v24, v15
	v_fma_f32 v25, 0x3fb8aa3b, v13, -v15
	s_delay_alu instid0(VALU_DEP_2) | instskip(NEXT) | instid1(VALU_DEP_2)
	v_sub_f32_e32 v15, v15, v24
	v_fmac_f32_e32 v25, 0x32a5705f, v13
	v_cvt_i32_f32_e32 v24, v24
	s_delay_alu instid0(VALU_DEP_2) | instskip(NEXT) | instid1(VALU_DEP_1)
	v_add_f32_e32 v15, v15, v25
	v_exp_f32_e32 v15, v15
	v_nop
	s_delay_alu instid0(TRANS32_DEP_1) | instskip(NEXT) | instid1(VALU_DEP_1)
	v_ldexp_f32 v15, v15, v24
	v_cndmask_b32_e32 v15, 0, v15, vcc_lo
	v_cmp_nlt_f32_e32 vcc_lo, 0x42b17218, v13
	s_delay_alu instid0(VALU_DEP_2) | instskip(NEXT) | instid1(VALU_DEP_1)
	v_cndmask_b32_e32 v13, 0x7f800000, v15, vcc_lo
	v_add_f32_e32 v13, 1.0, v13
	s_delay_alu instid0(VALU_DEP_1) | instskip(SKIP_1) | instid1(TRANS32_DEP_1)
	v_rcp_f32_e32 v13, v13
	v_nop
	v_fma_f32 v13, v13, -2.0, 1.0
.LBB20_19:                              ;   in Loop: Header=BB20_13 Depth=1
	s_and_not1_saveexec_b32 s8, s8
	s_cbranch_execz .LBB20_21
; %bb.20:                               ;   in Loop: Header=BB20_13 Depth=1
	v_mul_f32_e32 v13, v14, v14
	s_delay_alu instid0(VALU_DEP_1) | instskip(NEXT) | instid1(VALU_DEP_1)
	v_fmaak_f32 v15, s3, v13, 0x3ca908c9
	v_fmaak_f32 v15, v13, v15, 0xbd5c1c4e
	s_delay_alu instid0(VALU_DEP_1) | instskip(NEXT) | instid1(VALU_DEP_1)
	v_fmaak_f32 v15, v13, v15, 0x3e088382
	v_fmaak_f32 v15, v13, v15, 0xbeaaaa99
	s_delay_alu instid0(VALU_DEP_1) | instskip(NEXT) | instid1(VALU_DEP_1)
	v_mul_f32_e64 v15, |v14|, v15
	v_fma_f32 v13, v13, v15, |v14|
.LBB20_21:                              ;   in Loop: Header=BB20_13 Depth=1
	s_or_b32 exec_lo, exec_lo, s8
	s_mul_u64 s[8:9], s[4:5], s[10:11]
	s_wait_dscnt 0x0
	v_lshl_add_u64 v[24:25], s[8:9], 2, v[22:23]
	s_barrier_signal -1
	s_barrier_wait -1
	v_cvt_f32_f16_e32 v0, v0
	global_load_b128 v[46:49], v[24:25], off
	v_bfi_b32 v13, 0x7fffffff, v13, v14
	v_add_nc_u32_e32 v44, 0x1800, v28
	v_add_nc_u32_e32 v45, 0x2000, v28
	s_or_b32 s8, s4, 16
	s_delay_alu instid0(VALU_DEP_3) | instskip(SKIP_1) | instid1(SALU_CYCLE_1)
	v_dual_fmac_f32 v0, s21, v13 :: v_dual_max_num_f32 v13, v2, v2
	s_ashr_i32 s9, s8, 31
	s_mul_u64 s[8:9], s[8:9], s[10:11]
	s_delay_alu instid0(VALU_DEP_1) | instskip(NEXT) | instid1(VALU_DEP_1)
	v_add_f32_e32 v14, 0x40051340, v0
	v_max_num_f32_e32 v13, v13, v14
	ds_bpermute_b32 v4, v4, v13
	s_wait_dscnt 0x0
	v_max_num_f32_e32 v4, v4, v4
	s_delay_alu instid0(VALU_DEP_1) | instskip(SKIP_3) | instid1(VALU_DEP_1)
	v_max_num_f32_e32 v4, v13, v4
	ds_bpermute_b32 v5, v5, v4
	s_wait_dscnt 0x0
	v_max_num_f32_e32 v5, v5, v5
	v_max_num_f32_e32 v4, v4, v5
	ds_bpermute_b32 v5, v6, v4
	s_wait_dscnt 0x0
	v_dual_max_num_f32 v6, v12, v12 :: v_dual_max_num_f32 v5, v5, v5
	s_delay_alu instid0(VALU_DEP_1) | instskip(SKIP_3) | instid1(VALU_DEP_1)
	v_max_num_f32_e32 v4, v4, v5
	ds_bpermute_b32 v5, v7, v4
	v_max_num_f32_e32 v7, v10, v10
	s_wait_xcnt 0x0
	v_max_num_f32_e32 v24, v7, v6
	s_delay_alu instid0(VALU_DEP_1) | instskip(NEXT) | instid1(VALU_DEP_1)
	v_dual_sub_f32 v3, v3, v24 :: v_dual_sub_f32 v1, v1, v24
	v_dual_mul_f32 v6, 0x3fb8aa3b, v3 :: v_dual_mul_f32 v7, 0x3fb8aa3b, v1
	v_cmp_ngt_f32_e32 vcc_lo, 0xc2ce8ed0, v1
	s_wait_dscnt 0x0
	v_max_num_f32_e32 v5, v5, v5
	s_delay_alu instid0(VALU_DEP_3) | instskip(NEXT) | instid1(VALU_DEP_2)
	v_fma_f32 v10, 0x3fb8aa3b, v3, -v6
	v_max_num_f32_e32 v4, v4, v5
	s_delay_alu instid0(VALU_DEP_2) | instskip(SKIP_2) | instid1(VALU_DEP_1)
	v_fmac_f32_e32 v10, 0x32a5705f, v3
	ds_bpermute_b32 v5, v11, v4
	v_rndne_f32_e32 v11, v6
	v_sub_f32_e32 v6, v6, v11
	v_cvt_i32_f32_e32 v11, v11
	s_delay_alu instid0(VALU_DEP_2) | instskip(NEXT) | instid1(VALU_DEP_1)
	v_add_f32_e32 v6, v6, v10
	v_exp_f32_e32 v6, v6
	s_wait_dscnt 0x0
	v_max_num_f32_e32 v5, v5, v5
	s_delay_alu instid0(VALU_DEP_1) | instskip(SKIP_2) | instid1(VALU_DEP_3)
	v_max_num_f32_e32 v25, v4, v5
	v_fma_f32 v4, 0x3fb8aa3b, v1, -v7
	v_rndne_f32_e32 v5, v7
	v_dual_sub_f32 v0, v0, v25 :: v_dual_sub_f32 v2, v2, v25
	s_delay_alu instid0(VALU_DEP_3) | instskip(NEXT) | instid1(VALU_DEP_3)
	v_fmac_f32_e32 v4, 0x32a5705f, v1
	v_sub_f32_e32 v7, v7, v5
	v_cvt_i32_f32_e32 v5, v5
	s_delay_alu instid0(VALU_DEP_4) | instskip(NEXT) | instid1(VALU_DEP_3)
	v_mul_f32_e32 v12, 0x3fb8aa3b, v0
	v_dual_add_f32 v4, v7, v4 :: v_dual_mul_f32 v7, 0x3fb8aa3b, v2
	s_delay_alu instid0(VALU_DEP_2) | instskip(SKIP_1) | instid1(VALU_DEP_3)
	v_fma_f32 v10, 0x3fb8aa3b, v0, -v12
	v_rndne_f32_e32 v13, v12
	v_exp_f32_e32 v4, v4
	s_delay_alu instid0(VALU_DEP_3) | instskip(SKIP_1) | instid1(VALU_DEP_2)
	v_fma_f32 v14, 0x3fb8aa3b, v2, -v7
	v_rndne_f32_e32 v15, v7
	v_fmac_f32_e32 v14, 0x32a5705f, v2
	s_delay_alu instid0(TRANS32_DEP_1) | instskip(NEXT) | instid1(VALU_DEP_3)
	v_ldexp_f32 v4, v4, v5
	v_dual_sub_f32 v7, v7, v15 :: v_dual_sub_f32 v12, v12, v13
	v_ldexp_f32 v5, v6, v11
	v_cvt_i32_f32_e32 v11, v15
	s_delay_alu instid0(VALU_DEP_4) | instskip(SKIP_4) | instid1(VALU_DEP_3)
	v_cndmask_b32_e32 v4, 0, v4, vcc_lo
	v_cmp_ngt_f32_e32 vcc_lo, 0xc2ce8ed0, v3
	v_fmac_f32_e32 v10, 0x32a5705f, v0
	v_add_f32_e32 v6, v7, v14
	v_lshl_add_u64 v[14:15], s[8:9], 2, v[22:23]
	v_dual_cndmask_b32 v5, 0, v5 :: v_dual_add_f32 v10, v12, v10
	v_cmp_nlt_f32_e32 vcc_lo, 0x42b17218, v1
	s_delay_alu instid0(VALU_DEP_4) | instskip(NEXT) | instid1(VALU_DEP_2)
	v_exp_f32_e32 v6, v6
	v_exp_f32_e32 v7, v10
	v_nop
	v_cvt_i32_f32_e32 v10, v13
	s_delay_alu instid0(TRANS32_DEP_2)
	v_ldexp_f32 v1, v6, v11
	s_delay_alu instid0(TRANS32_DEP_1) | instid1(VALU_DEP_2)
	v_ldexp_f32 v7, v7, v10
	v_cndmask_b32_e32 v10, 0x7f800000, v4, vcc_lo
	v_cmp_ngt_f32_e32 vcc_lo, 0xc2ce8ed0, v0
	s_delay_alu instid0(VALU_DEP_3) | instskip(SKIP_3) | instid1(VALU_DEP_2)
	v_cndmask_b32_e32 v4, 0, v7, vcc_lo
	v_cmp_nlt_f32_e32 vcc_lo, 0x42b17218, v3
	v_cndmask_b32_e32 v12, 0x7f800000, v5, vcc_lo
	v_cmp_ngt_f32_e32 vcc_lo, 0xc2ce8ed0, v2
	v_cvt_f16_f32_e32 v3, v12
	v_cndmask_b32_e32 v1, 0, v1, vcc_lo
	v_cmp_nlt_f32_e32 vcc_lo, 0x42b17218, v0
	v_dual_cndmask_b32 v11, 0x7f800000, v4 :: v_dual_add_nc_u32 v0, v35, v27
	v_cmp_nlt_f32_e32 vcc_lo, 0x42b17218, v2
	v_and_b32_e32 v4, 0xffff, v3
	v_cndmask_b32_e32 v13, 0x7f800000, v1, vcc_lo
	s_delay_alu instid0(VALU_DEP_4) | instskip(NEXT) | instid1(VALU_DEP_3)
	v_cvt_pk_f16_f32 v1, v10, v11
	v_mul_u32_u24_e32 v70, 0x10001, v4
	ds_store_b32 v0, v1
	s_wait_loadcnt 0x0
	ds_store_b128 v36, v[46:49]
	v_cvt_f16_f32_e32 v5, v13
	s_wait_dscnt 0x0
	s_barrier_signal -1
	s_barrier_wait -1
	s_delay_alu instid0(VALU_DEP_1)
	v_and_b32_e32 v5, 0xffff, v5
	ds_load_b128 v[0:3], v35
	v_pk_mul_f16 v38, v38, v70
	v_mul_u32_u24_e32 v71, 0x10001, v5
	ds_load_b128 v[4:7], v35 offset:16
	v_pk_mul_f16 v9, v9, v71
	s_wait_dscnt 0x1
	v_and_b32_e32 v72, 0xffff, v0
	v_dual_lshrrev_b32 v0, 16, v0 :: v_dual_lshrrev_b32 v74, 16, v1
	v_lshrrev_b32_e32 v77, 16, v3
	v_and_b32_e32 v73, 0xffff, v1
	s_wait_dscnt 0x0
	v_lshrrev_b32_e32 v79, 16, v4
	v_pk_fma_f32 v[18:19], v[18:19], v[12:13], v[10:11]
	ds_load_2addr_b64 v[10:13], v44 offset1:32
	ds_load_b128 v[46:49], v35 offset:32
	ds_load_b128 v[50:53], v35 offset:48
	ds_load_2addr_b64 v[54:57], v44 offset0:64 offset1:96
	ds_load_2addr_b64 v[58:61], v44 offset0:128 offset1:160
	;; [unrolled: 1-line block ×3, first 2 shown]
	ds_load_2addr_b64 v[66:69], v45 offset1:32
	v_mul_u32_u24_e32 v1, 0x10001, v72
	v_mul_u32_u24_e32 v0, 0x10001, v0
	v_dual_lshrrev_b32 v76, 16, v2 :: v_dual_lshrrev_b32 v81, 16, v5
	v_and_b32_e32 v80, 0xffff, v4
	v_and_b32_e32 v82, 0xffff, v5
	;; [unrolled: 1-line block ×4, first 2 shown]
	v_dual_lshrrev_b32 v83, 16, v6 :: v_dual_lshrrev_b32 v85, 16, v7
	v_and_b32_e32 v84, 0xffff, v6
	v_and_b32_e32 v86, 0xffff, v7
	s_wait_dscnt 0x6
	v_pk_mul_f16 v4, v10, v1
	v_pk_mul_f16 v5, v10, v0
	v_pk_fma_f16 v10, v11, v1, v38
	v_pk_fma_f16 v9, v11, v0, v9
	v_mul_u32_u24_e32 v11, 0x10001, v73
	v_mul_u32_u24_e32 v38, 0x10001, v74
	v_pk_fma_f16 v37, v37, v70, v4
	v_pk_fma_f16 v8, v8, v71, v5
	s_wait_dscnt 0x5
	v_dual_lshrrev_b32 v87, 16, v46 :: v_dual_lshrrev_b32 v89, 16, v47
	v_and_b32_e32 v88, 0xffff, v46
	v_and_b32_e32 v90, 0xffff, v47
	v_dual_lshrrev_b32 v91, 16, v48 :: v_dual_lshrrev_b32 v93, 16, v49
	v_and_b32_e32 v92, 0xffff, v48
	v_and_b32_e32 v94, 0xffff, v49
	ds_load_2addr_b64 v[0:3], v45 offset0:64 offset1:96
	ds_load_2addr_b64 v[4:7], v45 offset0:128 offset1:160
	v_pk_fma_f16 v70, v13, v11, v10
	v_pk_fma_f16 v13, v13, v38, v9
	;; [unrolled: 1-line block ×4, first 2 shown]
	ds_load_2addr_b64 v[46:49], v45 offset0:192 offset1:224
	s_wait_dscnt 0x0
	s_barrier_signal -1
	s_barrier_wait -1
	global_load_b128 v[8:11], v[14:15], off
	s_wait_xcnt 0x0
	v_mul_u32_u24_e32 v14, 0x10001, v75
	v_mul_u32_u24_e32 v15, 0x10001, v76
	v_mul_u32_u24_e32 v38, 0x10001, v78
	v_mul_u32_u24_e32 v71, 0x10001, v77
	v_mul_u32_u24_e32 v73, 0x10001, v80
	v_pk_fma_f16 v70, v55, v14, v70
	v_pk_fma_f16 v13, v55, v15, v13
	v_pk_fma_f16 v14, v54, v14, v37
	v_pk_fma_f16 v12, v54, v15, v12
	v_mul_u32_u24_e32 v74, 0x10001, v79
	v_pk_fma_f16 v15, v57, v38, v70
	v_pk_fma_f16 v13, v57, v71, v13
	v_pk_fma_f16 v14, v56, v38, v14
	v_pk_fma_f16 v12, v56, v71, v12
	v_mul_u32_u24_e32 v75, 0x10001, v82
	v_mul_u32_u24_e32 v76, 0x10001, v81
	v_pk_fma_f16 v15, v59, v73, v15
	v_pk_fma_f16 v13, v59, v74, v13
	v_pk_fma_f16 v14, v58, v73, v14
	v_pk_fma_f16 v12, v58, v74, v12
	v_mul_u32_u24_e32 v77, 0x10001, v84
	;; [unrolled: 6-line block ×6, first 2 shown]
	v_mul_u32_u24_e32 v38, 0x10001, v91
	v_pk_fma_f16 v15, v69, v83, v15
	v_pk_fma_f16 v13, v69, v84, v13
	;; [unrolled: 1-line block ×4, first 2 shown]
	v_dual_lshrrev_b32 v95, 16, v50 :: v_dual_lshrrev_b32 v96, 16, v51
	v_and_b32_e32 v50, 0xffff, v50
	v_mul_u32_u24_e32 v54, 0x10001, v94
	v_mul_u32_u24_e32 v55, 0x10001, v93
	v_pk_fma_f16 v15, v1, v37, v15
	v_pk_fma_f16 v1, v1, v38, v13
	;; [unrolled: 1-line block ×4, first 2 shown]
	v_and_b32_e32 v51, 0xffff, v51
	v_mul_u32_u24_e32 v50, 0x10001, v50
	v_mul_u32_u24_e32 v56, 0x10001, v95
	v_pk_fma_f16 v12, v3, v54, v15
	v_pk_fma_f16 v1, v3, v55, v1
	;; [unrolled: 1-line block ×4, first 2 shown]
	v_dual_lshrrev_b32 v97, 16, v52 :: v_dual_lshrrev_b32 v72, 16, v53
	v_and_b32_e32 v52, 0xffff, v52
	v_mul_u32_u24_e32 v51, 0x10001, v51
	v_mul_u32_u24_e32 v57, 0x10001, v96
	v_pk_fma_f16 v2, v5, v50, v12
	v_pk_fma_f16 v1, v5, v56, v1
	;; [unrolled: 1-line block ×4, first 2 shown]
	v_and_b32_e32 v53, 0xffff, v53
	v_mul_u32_u24_e32 v14, 0x10001, v52
	v_mul_u32_u24_e32 v13, 0x10001, v97
	v_pk_fma_f16 v2, v7, v51, v2
	v_pk_fma_f16 v1, v7, v57, v1
	;; [unrolled: 1-line block ×4, first 2 shown]
	v_mul_u32_u24_e32 v5, 0x10001, v53
	v_pk_fma_f16 v2, v47, v14, v2
	v_mul_u32_u24_e32 v4, 0x10001, v72
	v_pk_fma_f16 v1, v47, v13, v1
	v_pk_fma_f16 v3, v46, v14, v3
	;; [unrolled: 1-line block ×4, first 2 shown]
	s_delay_alu instid0(VALU_DEP_4) | instskip(NEXT) | instid1(VALU_DEP_4)
	v_pk_fma_f16 v38, v49, v4, v1
	v_pk_fma_f16 v70, v48, v5, v3
	s_delay_alu instid0(VALU_DEP_4)
	v_pk_fma_f16 v71, v48, v4, v0
	s_wait_loadcnt 0x0
	ds_store_b128 v36, v[8:11]
	s_wait_dscnt 0x0
	s_barrier_signal -1
	s_barrier_wait -1
	ds_load_b128 v[8:11], v35 offset:64
	ds_load_b128 v[12:15], v35 offset:80
	;; [unrolled: 1-line block ×4, first 2 shown]
	ds_load_2addr_b64 v[46:49], v44 offset1:32
	ds_load_2addr_b64 v[50:53], v44 offset0:64 offset1:96
	ds_load_2addr_b64 v[54:57], v44 offset0:128 offset1:160
	;; [unrolled: 1-line block ×3, first 2 shown]
	ds_load_2addr_b64 v[62:65], v45 offset1:32
	ds_load_2addr_b64 v[66:69], v45 offset0:64 offset1:96
	s_wait_dscnt 0x7
	v_dual_lshrrev_b32 v79, 16, v4 :: v_dual_lshrrev_b32 v81, 16, v5
	v_and_b32_e32 v80, 0xffff, v4
	v_and_b32_e32 v82, 0xffff, v5
	v_dual_lshrrev_b32 v83, 16, v6 :: v_dual_lshrrev_b32 v85, 16, v7
	v_dual_lshrrev_b32 v44, 16, v8 :: v_dual_lshrrev_b32 v72, 16, v9
	v_and_b32_e32 v8, 0xffff, v8
	v_and_b32_e32 v9, 0xffff, v9
	v_dual_lshrrev_b32 v73, 16, v10 :: v_dual_lshrrev_b32 v74, 16, v11
	s_delay_alu instid0(VALU_DEP_4) | instskip(NEXT) | instid1(VALU_DEP_4)
	v_mul_u32_u24_e32 v5, 0x10001, v44
	v_mul_u32_u24_e32 v4, 0x10001, v8
	v_and_b32_e32 v10, 0xffff, v10
	v_and_b32_e32 v84, 0xffff, v6
	;; [unrolled: 1-line block ×3, first 2 shown]
	s_wait_dscnt 0x6
	v_dual_lshrrev_b32 v87, 16, v0 :: v_dual_lshrrev_b32 v89, 16, v1
	v_and_b32_e32 v88, 0xffff, v0
	v_and_b32_e32 v90, 0xffff, v1
	v_dual_lshrrev_b32 v91, 16, v2 :: v_dual_lshrrev_b32 v8, 16, v3
	v_and_b32_e32 v92, 0xffff, v2
	v_and_b32_e32 v44, 0xffff, v3
	ds_load_2addr_b64 v[0:3], v45 offset0:128 offset1:160
	s_wait_dscnt 0x6
	v_pk_fma_f16 v70, v46, v4, v70
	v_pk_fma_f16 v37, v47, v4, v37
	;; [unrolled: 1-line block ×4, first 2 shown]
	ds_load_2addr_b64 v[4:7], v45 offset0:192 offset1:224
	v_mul_u32_u24_e32 v9, 0x10001, v9
	v_mul_u32_u24_e32 v45, 0x10001, v72
	v_and_b32_e32 v11, 0xffff, v11
	v_mul_u32_u24_e32 v10, 0x10001, v10
	v_mul_u32_u24_e32 v47, 0x10001, v73
	v_pk_fma_f16 v70, v48, v9, v70
	v_pk_fma_f16 v46, v48, v45, v46
	;; [unrolled: 1-line block ×4, first 2 shown]
	v_dual_lshrrev_b32 v75, 16, v12 :: v_dual_lshrrev_b32 v76, 16, v13
	v_and_b32_e32 v12, 0xffff, v12
	v_mul_u32_u24_e32 v11, 0x10001, v11
	v_mul_u32_u24_e32 v71, 0x10001, v74
	s_wait_dscnt 0x6
	v_pk_fma_f16 v45, v50, v10, v70
	v_pk_fma_f16 v46, v50, v47, v46
	;; [unrolled: 1-line block ×4, first 2 shown]
	v_and_b32_e32 v13, 0xffff, v13
	v_mul_u32_u24_e32 v12, 0x10001, v12
	v_mul_u32_u24_e32 v72, 0x10001, v75
	v_pk_fma_f16 v45, v52, v11, v45
	v_pk_fma_f16 v46, v52, v71, v46
	;; [unrolled: 1-line block ×4, first 2 shown]
	v_dual_lshrrev_b32 v77, 16, v14 :: v_dual_lshrrev_b32 v78, 16, v15
	v_and_b32_e32 v14, 0xffff, v14
	v_mul_u32_u24_e32 v13, 0x10001, v13
	v_mul_u32_u24_e32 v73, 0x10001, v76
	s_wait_dscnt 0x5
	v_pk_fma_f16 v45, v54, v12, v45
	v_pk_fma_f16 v46, v54, v72, v46
	;; [unrolled: 1-line block ×4, first 2 shown]
	v_and_b32_e32 v15, 0xffff, v15
	v_mul_u32_u24_e32 v14, 0x10001, v14
	v_mul_u32_u24_e32 v74, 0x10001, v77
	v_pk_fma_f16 v45, v56, v13, v45
	v_pk_fma_f16 v46, v56, v73, v46
	v_pk_fma_f16 v9, v57, v13, v9
	v_pk_fma_f16 v10, v57, v73, v10
	v_mul_u32_u24_e32 v15, 0x10001, v15
	v_mul_u32_u24_e32 v75, 0x10001, v78
	s_wait_dscnt 0x4
	v_pk_fma_f16 v45, v58, v14, v45
	v_pk_fma_f16 v46, v58, v74, v46
	v_pk_fma_f16 v9, v59, v14, v9
	v_pk_fma_f16 v10, v59, v74, v10
	v_mul_u32_u24_e32 v76, 0x10001, v80
	v_mul_u32_u24_e32 v77, 0x10001, v79
	v_pk_fma_f16 v45, v60, v15, v45
	v_pk_fma_f16 v46, v60, v75, v46
	v_pk_fma_f16 v9, v61, v15, v9
	v_pk_fma_f16 v10, v61, v75, v10
	v_mul_u32_u24_e32 v78, 0x10001, v82
	v_mul_u32_u24_e32 v38, 0x10001, v81
	s_wait_dscnt 0x3
	v_pk_fma_f16 v45, v62, v76, v45
	v_pk_fma_f16 v46, v62, v77, v46
	v_pk_fma_f16 v9, v63, v76, v9
	v_pk_fma_f16 v10, v63, v77, v10
	;; [unrolled: 13-line block ×3, first 2 shown]
	s_wait_dscnt 0x0
	s_barrier_signal -1
	s_barrier_wait -1
	s_load_b32 s5, s[6:7], 0x4
	v_mul_u32_u24_e32 v14, 0x10001, v88
	v_mul_u32_u24_e32 v15, 0x10001, v87
	v_pk_fma_f16 v37, v68, v12, v45
	v_pk_fma_f16 v45, v68, v13, v46
	v_pk_fma_f16 v9, v69, v12, v9
	v_pk_fma_f16 v10, v69, v13, v10
	v_mul_u32_u24_e32 v47, 0x10001, v90
	v_mul_u32_u24_e32 v38, 0x10001, v89
	v_pk_fma_f16 v13, v0, v14, v37
	v_pk_fma_f16 v0, v0, v15, v45
	v_pk_fma_f16 v9, v1, v14, v9
	v_pk_fma_f16 v1, v1, v15, v10
	;; [unrolled: 6-line block ×4, first 2 shown]
	s_wait_kmcnt 0x0
	s_lshl_b32 s5, s5, 5
	v_pk_fma_f16 v37, v6, v10, v8
	v_pk_fma_f16 v8, v6, v3, v0
	;; [unrolled: 1-line block ×4, first 2 shown]
	s_add_co_i32 s4, s5, s4
	s_delay_alu instid0(SALU_CYCLE_1)
	s_cmp_ge_i32 s4, s28
	s_cbranch_scc1 .LBB20_23
; %bb.22:                               ;   in Loop: Header=BB20_13 Depth=1
	v_dual_mov_b32 v3, v24 :: v_dual_mov_b32 v2, v25
	s_branch .LBB20_13
.LBB20_23:
	v_mov_b32_e32 v0, v30
.LBB20_24:
	v_cmp_lt_i32_e32 vcc_lo, v43, v31
	s_cmp_lg_u64 s[12:13], 0
	s_cselect_b32 s3, -1, 0
	s_cmp_eq_u32 s20, 0
	v_cndmask_b32_e32 v1, v0, v43, vcc_lo
	v_cmp_lt_i32_e32 vcc_lo, v39, v31
	s_cselect_b32 s4, -1, 0
	s_delay_alu instid0(SALU_CYCLE_1) | instskip(NEXT) | instid1(VALU_DEP_2)
	s_and_b32 s3, s4, s3
	v_lshlrev_b32_e32 v1, 2, v1
	ds_bpermute_b32 v2, v1, v18
	ds_bpermute_b32 v3, v1, v19
	v_cndmask_b32_e32 v1, v0, v39, vcc_lo
	v_cmp_lt_i32_e32 vcc_lo, v40, v31
	s_delay_alu instid0(VALU_DEP_2)
	v_lshlrev_b32_e32 v1, 2, v1
	s_wait_dscnt 0x0
	v_pk_add_f32 v[2:3], v[18:19], v[2:3]
	ds_bpermute_b32 v4, v1, v2
	ds_bpermute_b32 v5, v1, v3
	v_cndmask_b32_e32 v1, v0, v40, vcc_lo
	v_cmp_lt_i32_e32 vcc_lo, v41, v31
	s_delay_alu instid0(VALU_DEP_2)
	v_lshlrev_b32_e32 v1, 2, v1
	s_wait_dscnt 0x0
	v_pk_add_f32 v[2:3], v[2:3], v[4:5]
	ds_bpermute_b32 v4, v1, v2
	ds_bpermute_b32 v5, v1, v3
	v_cndmask_b32_e32 v1, v0, v41, vcc_lo
	v_cmp_lt_i32_e32 vcc_lo, v42, v31
	s_delay_alu instid0(VALU_DEP_2) | instskip(SKIP_2) | instid1(VALU_DEP_1)
	v_dual_cndmask_b32 v0, v0, v42 :: v_dual_lshlrev_b32 v1, 2, v1
	s_and_b32 vcc_lo, exec_lo, s3
	s_mov_b32 s3, 0
	v_lshlrev_b32_e32 v6, 2, v0
	s_wait_dscnt 0x0
	v_pk_add_f32 v[2:3], v[2:3], v[4:5]
	ds_bpermute_b32 v4, v1, v2
	ds_bpermute_b32 v5, v1, v3
	s_wait_dscnt 0x0
	v_pk_add_f32 v[0:1], v[2:3], v[4:5]
	v_add_nc_u32_e32 v2, s33, v16
	ds_bpermute_b32 v4, v6, v0
	ds_bpermute_b32 v5, v6, v1
	s_cbranch_vccnz .LBB20_27
; %bb.25:
	v_add_nc_u32_e32 v3, s33, v16
	s_wait_dscnt 0x0
	v_pk_add_f32 v[0:1], v[0:1], v[4:5]
	s_and_not1_b32 vcc_lo, exec_lo, s3
	s_cbranch_vccz .LBB20_28
; %bb.26:
	v_mov_b32_e32 v2, v3
	s_branch .LBB20_29
.LBB20_27:
                                        ; implicit-def: $vgpr3
	s_wait_dscnt 0x0
	v_pk_add_f32 v[0:1], v[0:1], v[4:5]
.LBB20_28:
	v_dual_ashrrev_i32 v3, 31, v2 :: v_dual_max_num_f32 v7, v25, v25
	s_delay_alu instid0(VALU_DEP_1) | instskip(SKIP_4) | instid1(VALU_DEP_1)
	v_lshl_add_u64 v[4:5], v[2:3], 2, s[12:13]
	v_max_num_f32_e32 v3, v24, v24
	global_load_b64 v[4:5], v[4:5], off
	s_wait_loadcnt 0x0
	v_dual_max_num_f32 v6, v4, v4 :: v_dual_max_num_f32 v10, v5, v5
	v_max_num_f32_e32 v6, v3, v6
	s_delay_alu instid0(VALU_DEP_1) | instskip(NEXT) | instid1(VALU_DEP_3)
	v_sub_f32_e32 v3, v24, v6
	v_max_num_f32_e32 v7, v7, v10
	v_sub_f32_e32 v10, v4, v6
	s_delay_alu instid0(VALU_DEP_3) | instskip(NEXT) | instid1(VALU_DEP_3)
	v_mul_f32_e32 v4, 0x3fb8aa3b, v3
	v_sub_f32_e32 v11, v25, v7
	s_delay_alu instid0(VALU_DEP_3) | instskip(SKIP_1) | instid1(VALU_DEP_4)
	v_dual_sub_f32 v12, v5, v7 :: v_dual_mul_f32 v5, 0x3fb8aa3b, v10
	v_cmp_ngt_f32_e32 vcc_lo, 0xc2ce8ed0, v3
	v_fma_f32 v15, 0x3fb8aa3b, v3, -v4
	v_rndne_f32_e32 v16, v4
	s_delay_alu instid0(VALU_DEP_4) | instskip(SKIP_1) | instid1(VALU_DEP_3)
	v_dual_mul_f32 v13, 0x3fb8aa3b, v11 :: v_dual_mul_f32 v14, 0x3fb8aa3b, v12
	v_fma_f32 v18, 0x3fb8aa3b, v10, -v5
	v_dual_fmac_f32 v15, 0x32a5705f, v3 :: v_dual_sub_f32 v4, v4, v16
	s_delay_alu instid0(VALU_DEP_3) | instskip(SKIP_1) | instid1(VALU_DEP_4)
	v_fma_f32 v20, 0x3fb8aa3b, v11, -v13
	v_rndne_f32_e32 v21, v13
	v_fmac_f32_e32 v18, 0x32a5705f, v10
	v_rndne_f32_e32 v19, v5
	v_fma_f32 v22, 0x3fb8aa3b, v12, -v14
	s_delay_alu instid0(VALU_DEP_4)
	v_dual_fmac_f32 v20, 0x32a5705f, v11 :: v_dual_sub_f32 v13, v13, v21
	v_add_f32_e32 v4, v4, v15
	v_rndne_f32_e32 v23, v14
	v_cvt_i32_f32_e32 v16, v16
	v_dual_sub_f32 v5, v5, v19 :: v_dual_fmac_f32 v22, 0x32a5705f, v12
	v_add_f32_e32 v13, v13, v20
	v_exp_f32_e32 v4, v4
	s_delay_alu instid0(VALU_DEP_2) | instskip(SKIP_1) | instid1(VALU_DEP_3)
	v_dual_sub_f32 v14, v14, v23 :: v_dual_add_f32 v5, v5, v18
	v_cvt_i32_f32_e32 v18, v21
	v_exp_f32_e32 v13, v13
	v_cvt_i32_f32_e32 v15, v19
	v_cvt_i32_f32_e32 v19, v23
	s_delay_alu instid0(TRANS32_DEP_2)
	v_ldexp_f32 v4, v4, v16
	v_add_f32_e32 v14, v14, v22
	v_exp_f32_e32 v5, v5
	v_mov_b64_e32 v[24:25], v[6:7]
	v_ldexp_f32 v13, v13, v18
	v_cndmask_b32_e32 v4, 0, v4, vcc_lo
	v_cmp_ngt_f32_e32 vcc_lo, 0xc2ce8ed0, v11
	v_exp_f32_e32 v14, v14
	s_delay_alu instid0(VALU_DEP_3) | instskip(SKIP_4) | instid1(TRANS32_DEP_1)
	v_cndmask_b32_e32 v13, 0, v13, vcc_lo
	v_cmp_nlt_f32_e32 vcc_lo, 0x42b17218, v3
	v_ldexp_f32 v3, v5, v15
	v_cndmask_b32_e32 v4, 0x7f800000, v4, vcc_lo
	v_cmp_nlt_f32_e32 vcc_lo, 0x42b17218, v11
	v_ldexp_f32 v11, v14, v19
	v_cndmask_b32_e32 v5, 0x7f800000, v13, vcc_lo
	v_cmp_ngt_f32_e32 vcc_lo, 0xc2ce8ed0, v10
	v_cvt_f16_f32_e32 v13, v4
	s_delay_alu instid0(VALU_DEP_3) | instskip(SKIP_2) | instid1(VALU_DEP_4)
	v_cvt_f16_f32_e32 v14, v5
	v_cndmask_b32_e32 v3, 0, v3, vcc_lo
	v_cmp_ngt_f32_e32 vcc_lo, 0xc2ce8ed0, v12
	v_and_b32_e32 v13, 0xffff, v13
	v_cndmask_b32_e32 v11, 0, v11, vcc_lo
	v_cmp_nlt_f32_e32 vcc_lo, 0x42b17218, v10
	v_cndmask_b32_e32 v10, 0x7f800000, v3, vcc_lo
	v_and_b32_e32 v3, 0xffff, v14
	v_cmp_nlt_f32_e32 vcc_lo, 0x42b17218, v12
	v_mul_u32_u24_e32 v12, 0x10001, v13
	s_delay_alu instid0(VALU_DEP_3) | instskip(SKIP_1) | instid1(VALU_DEP_3)
	v_mul_u32_u24_e32 v3, 0x10001, v3
	v_cndmask_b32_e32 v11, 0x7f800000, v11, vcc_lo
	v_pk_mul_f16 v37, v37, v12
	v_pk_mul_f16 v38, v38, v12
	s_delay_alu instid0(VALU_DEP_4) | instskip(NEXT) | instid1(VALU_DEP_4)
	v_pk_mul_f16 v8, v8, v3
	v_pk_fma_f32 v[0:1], v[0:1], v[4:5], v[10:11]
	v_pk_mul_f16 v9, v9, v3
.LBB20_29:
	s_load_b32 s0, s[0:1], 0xd4
	v_mov_b32_e32 v4, 1.0
	s_wait_kmcnt 0x0
	s_cmp_lg_u32 s0, 1
	s_cselect_b32 s3, -1, 0
	s_cmp_eq_u32 s0, 1
	s_cselect_b32 s1, -1, 0
	s_and_b32 vcc_lo, exec_lo, s3
	s_cbranch_vccnz .LBB20_31
; %bb.30:
	v_div_scale_f32 v3, null, v0, v0, 1.0
	s_delay_alu instid0(VALU_DEP_1) | instskip(SKIP_1) | instid1(TRANS32_DEP_1)
	v_rcp_f32_e32 v4, v3
	v_nop
	v_fma_f32 v5, -v3, v4, 1.0
	s_delay_alu instid0(VALU_DEP_1) | instskip(SKIP_1) | instid1(VALU_DEP_1)
	v_fmac_f32_e32 v4, v5, v4
	v_div_scale_f32 v5, vcc_lo, 1.0, v0, 1.0
	v_mul_f32_e32 v6, v5, v4
	s_delay_alu instid0(VALU_DEP_1) | instskip(NEXT) | instid1(VALU_DEP_1)
	v_fma_f32 v7, -v3, v6, v5
	v_fmac_f32_e32 v6, v7, v4
	s_delay_alu instid0(VALU_DEP_1) | instskip(NEXT) | instid1(VALU_DEP_1)
	v_fma_f32 v3, -v3, v6, v5
	v_div_fmas_f32 v3, v3, v4, v6
	s_delay_alu instid0(VALU_DEP_1)
	v_div_fixup_f32 v4, v3, v0, 1.0
.LBB20_31:
	v_mad_u32 v3, s2, s22, v26
	v_lshrrev_b32_e32 v5, 16, v38
	v_cvt_f32_f16_e32 v10, v37
	v_cvt_f32_f16_e32 v12, v38
	v_cmp_eq_u32_e32 vcc_lo, 0, v17
	v_mov_b32_e32 v7, 0
	v_cvt_f32_f16_e32 v13, v5
	s_and_b32 s2, vcc_lo, s3
	v_mad_u32 v2, v3, s23, v2
	v_lshrrev_b32_e32 v3, 16, v37
	s_delay_alu instid0(VALU_DEP_3) | instskip(NEXT) | instid1(VALU_DEP_2)
	v_pk_mul_f32 v[12:13], v[4:5], v[12:13] op_sel_hi:[0,1]
	v_cvt_f32_f16_e32 v11, v3
	s_delay_alu instid0(VALU_DEP_1) | instskip(SKIP_1) | instid1(VALU_DEP_1)
	v_pk_mul_f32 v[10:11], v[4:5], v[10:11] op_sel_hi:[0,1]
	v_mad_u32 v2, s0, v2, s20
	v_lshl_add_u32 v6, v2, 7, v27
	s_delay_alu instid0(VALU_DEP_1)
	v_lshl_add_u64 v[6:7], v[6:7], 2, s[16:17]
	global_store_b128 v[6:7], v[10:13], off
	s_wait_xcnt 0x0
	s_and_saveexec_b32 s3, s2
	s_cbranch_execz .LBB20_33
; %bb.32:
	v_dual_mov_b32 v4, v24 :: v_dual_mov_b32 v5, v0
	global_store_b64 v2, v[4:5], s[18:19] scale_offset
.LBB20_33:
	s_wait_xcnt 0x0
	s_or_b32 exec_lo, exec_lo, s3
	v_mov_b32_e32 v0, 1.0
	s_and_not1_b32 vcc_lo, exec_lo, s1
	s_cbranch_vccnz .LBB20_35
; %bb.34:
	v_div_scale_f32 v0, null, v1, v1, 1.0
	s_delay_alu instid0(VALU_DEP_1) | instskip(SKIP_1) | instid1(TRANS32_DEP_1)
	v_rcp_f32_e32 v3, v0
	v_nop
	v_fma_f32 v4, -v0, v3, 1.0
	s_delay_alu instid0(VALU_DEP_1) | instskip(SKIP_1) | instid1(VALU_DEP_1)
	v_fmac_f32_e32 v3, v4, v3
	v_div_scale_f32 v4, vcc_lo, 1.0, v1, 1.0
	v_mul_f32_e32 v5, v4, v3
	s_delay_alu instid0(VALU_DEP_1) | instskip(NEXT) | instid1(VALU_DEP_1)
	v_fma_f32 v6, -v0, v5, v4
	v_fmac_f32_e32 v5, v6, v3
	s_delay_alu instid0(VALU_DEP_1) | instskip(NEXT) | instid1(VALU_DEP_1)
	v_fma_f32 v0, -v0, v5, v4
	v_div_fmas_f32 v0, v0, v3, v5
	s_delay_alu instid0(VALU_DEP_1)
	v_div_fixup_f32 v0, v0, v1, 1.0
.LBB20_35:
	v_dual_add_nc_u32 v2, s0, v2 :: v_dual_lshrrev_b32 v3, 16, v8
	v_dual_mov_b32 v5, 0 :: v_dual_lshrrev_b32 v10, 16, v9
	v_cvt_f32_f16_e32 v6, v8
	s_delay_alu instid0(VALU_DEP_3) | instskip(NEXT) | instid1(VALU_DEP_4)
	v_lshl_add_u32 v4, v2, 7, v27
	v_cvt_f32_f16_e32 v7, v3
	v_cvt_f32_f16_e32 v8, v9
	;; [unrolled: 1-line block ×3, first 2 shown]
	s_delay_alu instid0(VALU_DEP_4) | instskip(NEXT) | instid1(VALU_DEP_4)
	v_lshl_add_u64 v[10:11], v[4:5], 2, s[16:17]
	v_pk_mul_f32 v[4:5], v[0:1], v[6:7] op_sel_hi:[0,1]
	s_delay_alu instid0(VALU_DEP_3)
	v_pk_mul_f32 v[6:7], v[0:1], v[8:9] op_sel_hi:[0,1]
	global_store_b128 v[10:11], v[4:7], off
	s_wait_xcnt 0x0
	s_and_saveexec_b32 s0, s2
	s_cbranch_execz .LBB20_37
; %bb.36:
	v_mov_b32_e32 v0, v25
	global_store_b64 v2, v[0:1], s[18:19] scale_offset
.LBB20_37:
	s_sendmsg sendmsg(MSG_DEALLOC_VGPRS)
	s_endpgm
	.section	.rodata,"a",@progbits
	.p2align	6, 0x0
	.amdhsa_kernel _ZL15flash_attn_tileILi192ELi128ELi1ELi16ELb1EEvPKcS1_S1_S1_S1_PKiPfP15HIP_vector_typeIfLj2EEffffjfiS5_IjLj3EEiiiiiiiiiiiliiliiiiil
		.amdhsa_group_segment_fixed_size 11776
		.amdhsa_private_segment_fixed_size 0
		.amdhsa_kernarg_size 464
		.amdhsa_user_sgpr_count 2
		.amdhsa_user_sgpr_dispatch_ptr 0
		.amdhsa_user_sgpr_queue_ptr 0
		.amdhsa_user_sgpr_kernarg_segment_ptr 1
		.amdhsa_user_sgpr_dispatch_id 0
		.amdhsa_user_sgpr_kernarg_preload_length 0
		.amdhsa_user_sgpr_kernarg_preload_offset 0
		.amdhsa_user_sgpr_private_segment_size 0
		.amdhsa_wavefront_size32 1
		.amdhsa_uses_dynamic_stack 0
		.amdhsa_enable_private_segment 0
		.amdhsa_system_sgpr_workgroup_id_x 1
		.amdhsa_system_sgpr_workgroup_id_y 1
		.amdhsa_system_sgpr_workgroup_id_z 1
		.amdhsa_system_sgpr_workgroup_info 0
		.amdhsa_system_vgpr_workitem_id 1
		.amdhsa_next_free_vgpr 98
		.amdhsa_next_free_sgpr 43
		.amdhsa_named_barrier_count 0
		.amdhsa_reserve_vcc 1
		.amdhsa_float_round_mode_32 0
		.amdhsa_float_round_mode_16_64 0
		.amdhsa_float_denorm_mode_32 3
		.amdhsa_float_denorm_mode_16_64 3
		.amdhsa_fp16_overflow 0
		.amdhsa_memory_ordered 1
		.amdhsa_forward_progress 1
		.amdhsa_inst_pref_size 65
		.amdhsa_round_robin_scheduling 0
		.amdhsa_exception_fp_ieee_invalid_op 0
		.amdhsa_exception_fp_denorm_src 0
		.amdhsa_exception_fp_ieee_div_zero 0
		.amdhsa_exception_fp_ieee_overflow 0
		.amdhsa_exception_fp_ieee_underflow 0
		.amdhsa_exception_fp_ieee_inexact 0
		.amdhsa_exception_int_div_zero 0
	.end_amdhsa_kernel
	.section	.text._ZL15flash_attn_tileILi192ELi128ELi1ELi16ELb1EEvPKcS1_S1_S1_S1_PKiPfP15HIP_vector_typeIfLj2EEffffjfiS5_IjLj3EEiiiiiiiiiiiliiliiiiil,"axG",@progbits,_ZL15flash_attn_tileILi192ELi128ELi1ELi16ELb1EEvPKcS1_S1_S1_S1_PKiPfP15HIP_vector_typeIfLj2EEffffjfiS5_IjLj3EEiiiiiiiiiiiliiliiiiil,comdat
.Lfunc_end20:
	.size	_ZL15flash_attn_tileILi192ELi128ELi1ELi16ELb1EEvPKcS1_S1_S1_S1_PKiPfP15HIP_vector_typeIfLj2EEffffjfiS5_IjLj3EEiiiiiiiiiiiliiliiiiil, .Lfunc_end20-_ZL15flash_attn_tileILi192ELi128ELi1ELi16ELb1EEvPKcS1_S1_S1_S1_PKiPfP15HIP_vector_typeIfLj2EEffffjfiS5_IjLj3EEiiiiiiiiiiiliiliiiiil
                                        ; -- End function
	.set _ZL15flash_attn_tileILi192ELi128ELi1ELi16ELb1EEvPKcS1_S1_S1_S1_PKiPfP15HIP_vector_typeIfLj2EEffffjfiS5_IjLj3EEiiiiiiiiiiiliiliiiiil.num_vgpr, 98
	.set _ZL15flash_attn_tileILi192ELi128ELi1ELi16ELb1EEvPKcS1_S1_S1_S1_PKiPfP15HIP_vector_typeIfLj2EEffffjfiS5_IjLj3EEiiiiiiiiiiiliiliiiiil.num_agpr, 0
	.set _ZL15flash_attn_tileILi192ELi128ELi1ELi16ELb1EEvPKcS1_S1_S1_S1_PKiPfP15HIP_vector_typeIfLj2EEffffjfiS5_IjLj3EEiiiiiiiiiiiliiliiiiil.numbered_sgpr, 43
	.set _ZL15flash_attn_tileILi192ELi128ELi1ELi16ELb1EEvPKcS1_S1_S1_S1_PKiPfP15HIP_vector_typeIfLj2EEffffjfiS5_IjLj3EEiiiiiiiiiiiliiliiiiil.num_named_barrier, 0
	.set _ZL15flash_attn_tileILi192ELi128ELi1ELi16ELb1EEvPKcS1_S1_S1_S1_PKiPfP15HIP_vector_typeIfLj2EEffffjfiS5_IjLj3EEiiiiiiiiiiiliiliiiiil.private_seg_size, 0
	.set _ZL15flash_attn_tileILi192ELi128ELi1ELi16ELb1EEvPKcS1_S1_S1_S1_PKiPfP15HIP_vector_typeIfLj2EEffffjfiS5_IjLj3EEiiiiiiiiiiiliiliiiiil.uses_vcc, 1
	.set _ZL15flash_attn_tileILi192ELi128ELi1ELi16ELb1EEvPKcS1_S1_S1_S1_PKiPfP15HIP_vector_typeIfLj2EEffffjfiS5_IjLj3EEiiiiiiiiiiiliiliiiiil.uses_flat_scratch, 0
	.set _ZL15flash_attn_tileILi192ELi128ELi1ELi16ELb1EEvPKcS1_S1_S1_S1_PKiPfP15HIP_vector_typeIfLj2EEffffjfiS5_IjLj3EEiiiiiiiiiiiliiliiiiil.has_dyn_sized_stack, 0
	.set _ZL15flash_attn_tileILi192ELi128ELi1ELi16ELb1EEvPKcS1_S1_S1_S1_PKiPfP15HIP_vector_typeIfLj2EEffffjfiS5_IjLj3EEiiiiiiiiiiiliiliiiiil.has_recursion, 0
	.set _ZL15flash_attn_tileILi192ELi128ELi1ELi16ELb1EEvPKcS1_S1_S1_S1_PKiPfP15HIP_vector_typeIfLj2EEffffjfiS5_IjLj3EEiiiiiiiiiiiliiliiiiil.has_indirect_call, 0
	.section	.AMDGPU.csdata,"",@progbits
; Kernel info:
; codeLenInByte = 8304
; TotalNumSgprs: 45
; NumVgprs: 98
; ScratchSize: 0
; MemoryBound: 0
; FloatMode: 240
; IeeeMode: 1
; LDSByteSize: 11776 bytes/workgroup (compile time only)
; SGPRBlocks: 0
; VGPRBlocks: 6
; NumSGPRsForWavesPerEU: 45
; NumVGPRsForWavesPerEU: 98
; NamedBarCnt: 0
; Occupancy: 9
; WaveLimiterHint : 1
; COMPUTE_PGM_RSRC2:SCRATCH_EN: 0
; COMPUTE_PGM_RSRC2:USER_SGPR: 2
; COMPUTE_PGM_RSRC2:TRAP_HANDLER: 0
; COMPUTE_PGM_RSRC2:TGID_X_EN: 1
; COMPUTE_PGM_RSRC2:TGID_Y_EN: 1
; COMPUTE_PGM_RSRC2:TGID_Z_EN: 1
; COMPUTE_PGM_RSRC2:TIDIG_COMP_CNT: 1
	.section	.text._ZL15flash_attn_tileILi192ELi128ELi4ELi8ELb1EEvPKcS1_S1_S1_S1_PKiPfP15HIP_vector_typeIfLj2EEffffjfiS5_IjLj3EEiiiiiiiiiiiliiliiiiil,"axG",@progbits,_ZL15flash_attn_tileILi192ELi128ELi4ELi8ELb1EEvPKcS1_S1_S1_S1_PKiPfP15HIP_vector_typeIfLj2EEffffjfiS5_IjLj3EEiiiiiiiiiiiliiliiiiil,comdat
	.globl	_ZL15flash_attn_tileILi192ELi128ELi4ELi8ELb1EEvPKcS1_S1_S1_S1_PKiPfP15HIP_vector_typeIfLj2EEffffjfiS5_IjLj3EEiiiiiiiiiiiliiliiiiil ; -- Begin function _ZL15flash_attn_tileILi192ELi128ELi4ELi8ELb1EEvPKcS1_S1_S1_S1_PKiPfP15HIP_vector_typeIfLj2EEffffjfiS5_IjLj3EEiiiiiiiiiiiliiliiiiil
	.p2align	8
	.type	_ZL15flash_attn_tileILi192ELi128ELi4ELi8ELb1EEvPKcS1_S1_S1_S1_PKiPfP15HIP_vector_typeIfLj2EEffffjfiS5_IjLj3EEiiiiiiiiiiiliiliiiiil,@function
_ZL15flash_attn_tileILi192ELi128ELi4ELi8ELb1EEvPKcS1_S1_S1_S1_PKiPfP15HIP_vector_typeIfLj2EEffffjfiS5_IjLj3EEiiiiiiiiiiiliiliiiiil: ; @_ZL15flash_attn_tileILi192ELi128ELi4ELi8ELb1EEvPKcS1_S1_S1_S1_PKiPfP15HIP_vector_typeIfLj2EEffffjfiS5_IjLj3EEiiiiiiiiiiiliiliiiiil
; %bb.0:
	s_clause 0x1
	s_load_b128 s[20:23], s[0:1], 0x5c
	s_load_b64 s[28:29], s[0:1], 0x80
	s_bfe_u32 s5, ttmp6, 0x40014
	s_lshr_b32 s4, ttmp7, 16
	s_add_co_i32 s5, s5, 1
	s_bfe_u32 s6, ttmp6, 0x40008
	s_mul_i32 s5, s4, s5
	s_getreg_b32 s24, hwreg(HW_REG_IB_STS2, 6, 4)
	s_add_co_i32 s6, s6, s5
	s_load_b64 s[36:37], s[0:1], 0xb8
	s_mov_b32 s35, 0
	s_mov_b64 s[30:31], 0
	s_wait_kmcnt 0x0
	s_ashr_i32 s2, s23, 31
	s_delay_alu instid0(SALU_CYCLE_1) | instskip(NEXT) | instid1(SALU_CYCLE_1)
	s_lshr_b32 s2, s2, 29
	s_add_co_i32 s2, s23, s2
	s_delay_alu instid0(SALU_CYCLE_1) | instskip(NEXT) | instid1(SALU_CYCLE_1)
	s_ashr_i32 s2, s2, 3
	s_cvt_f32_u32 s3, s2
	s_sub_co_i32 s7, 0, s2
	s_delay_alu instid0(SALU_CYCLE_2) | instskip(SKIP_1) | instid1(TRANS32_DEP_1)
	v_rcp_iflag_f32_e32 v1, s3
	v_nop
	v_readfirstlane_b32 s3, v1
	s_mul_f32 s3, s3, 0x4f7ffffe
	s_delay_alu instid0(SALU_CYCLE_3) | instskip(NEXT) | instid1(SALU_CYCLE_3)
	s_cvt_u32_f32 s3, s3
	s_mul_i32 s7, s7, s3
	s_delay_alu instid0(SALU_CYCLE_1) | instskip(NEXT) | instid1(SALU_CYCLE_1)
	s_mul_hi_u32 s7, s3, s7
	s_add_co_i32 s3, s3, s7
	s_cmp_eq_u32 s24, 0
	s_cselect_b32 s4, s4, s6
	s_delay_alu instid0(SALU_CYCLE_1) | instskip(NEXT) | instid1(SALU_CYCLE_1)
	s_mul_hi_u32 s3, s4, s3
	s_mul_i32 s5, s3, s2
	s_add_co_i32 s6, s3, 1
	s_sub_co_i32 s5, s4, s5
	s_delay_alu instid0(SALU_CYCLE_1)
	s_sub_co_i32 s7, s5, s2
	s_cmp_ge_u32 s5, s2
	s_cselect_b32 s3, s6, s3
	s_cselect_b32 s5, s7, s5
	s_add_co_i32 s6, s3, 1
	s_cmp_ge_u32 s5, s2
	s_cselect_b32 s2, s6, s3
	s_abs_i32 s3, s29
	s_lshl_b32 s4, s4, 3
	s_cvt_f32_u32 s5, s3
	s_sub_co_i32 s6, 0, s3
	s_mul_i32 s7, s2, s23
	s_abs_i32 s8, s23
	v_rcp_iflag_f32_e32 v1, s5
	s_sub_co_i32 s33, s4, s7
	v_nop
	s_delay_alu instid0(TRANS32_DEP_1) | instskip(SKIP_1) | instid1(SALU_CYCLE_3)
	v_readfirstlane_b32 s5, v1
	s_mul_f32 s5, s5, 0x4f7ffffe
	s_cvt_u32_f32 s5, s5
	s_delay_alu instid0(SALU_CYCLE_3) | instskip(NEXT) | instid1(SALU_CYCLE_1)
	s_mul_i32 s6, s6, s5
	s_mul_hi_u32 s6, s5, s6
	s_delay_alu instid0(SALU_CYCLE_1) | instskip(NEXT) | instid1(SALU_CYCLE_1)
	s_add_co_i32 s5, s5, s6
	s_mul_hi_u32 s4, s8, s5
	s_xor_b32 s5, s23, s29
	s_mul_i32 s6, s4, s3
	s_ashr_i32 s25, s5, 31
	s_sub_co_i32 s5, s8, s6
	s_add_co_i32 s6, s4, 1
	s_sub_co_i32 s7, s5, s3
	s_cmp_ge_u32 s5, s3
	s_cselect_b32 s4, s6, s4
	s_cselect_b32 s5, s7, s5
	s_add_co_i32 s6, s4, 1
	s_cmp_ge_u32 s5, s3
	s_cselect_b32 s3, s6, s4
	s_load_b512 s[4:19], s[0:1], 0x0
	s_xor_b32 s3, s3, s25
	s_delay_alu instid0(SALU_CYCLE_1) | instskip(NEXT) | instid1(SALU_CYCLE_1)
	s_sub_co_i32 s3, s3, s25
	s_abs_i32 s38, s3
	s_delay_alu instid0(SALU_CYCLE_1) | instskip(NEXT) | instid1(SALU_CYCLE_3)
	s_cvt_f32_u32 s25, s38
	v_rcp_iflag_f32_e32 v1, s25
	v_nop
	s_delay_alu instid0(TRANS32_DEP_1)
	v_readfirstlane_b32 s25, v1
	s_wait_kmcnt 0x0
	s_cmp_eq_u64 s[10:11], 0
	s_cbranch_scc1 .LBB21_2
; %bb.1:
	s_abs_i32 s29, s36
	s_abs_i32 s30, s2
	s_cvt_f32_u32 s26, s29
	s_sub_co_i32 s27, 0, s29
	s_delay_alu instid0(SALU_CYCLE_2) | instskip(SKIP_1) | instid1(TRANS32_DEP_1)
	v_rcp_iflag_f32_e32 v1, s26
	v_nop
	v_readfirstlane_b32 s26, v1
	s_mul_f32 s26, s26, 0x4f7ffffe
	s_delay_alu instid0(SALU_CYCLE_3) | instskip(NEXT) | instid1(SALU_CYCLE_3)
	s_cvt_u32_f32 s26, s26
	s_mul_i32 s27, s27, s26
	s_delay_alu instid0(SALU_CYCLE_1) | instskip(NEXT) | instid1(SALU_CYCLE_1)
	s_mul_hi_u32 s27, s26, s27
	s_add_co_i32 s26, s26, s27
	s_delay_alu instid0(SALU_CYCLE_1) | instskip(SKIP_2) | instid1(SALU_CYCLE_1)
	s_mul_hi_u32 s31, s30, s26
	s_load_b64 s[26:27], s[0:1], 0xc8
	s_mul_i32 s31, s31, s29
	s_sub_co_i32 s30, s30, s31
	s_ashr_i32 s31, s2, 31
	s_sub_co_i32 s34, s30, s29
	s_cmp_ge_u32 s30, s29
	s_cselect_b32 s30, s34, s30
	s_delay_alu instid0(SALU_CYCLE_1) | instskip(SKIP_2) | instid1(SALU_CYCLE_1)
	s_sub_co_i32 s34, s30, s29
	s_cmp_ge_u32 s30, s29
	s_cselect_b32 s29, s34, s30
	s_xor_b32 s29, s29, s31
	s_delay_alu instid0(SALU_CYCLE_1) | instskip(NEXT) | instid1(SALU_CYCLE_1)
	s_sub_co_i32 s30, s29, s31
	s_ashr_i32 s31, s30, 31
	s_wait_kmcnt 0x0
	s_mul_u64 s[26:27], s[26:27], s[30:31]
	s_delay_alu instid0(SALU_CYCLE_1)
	s_add_nc_u64 s[30:31], s[10:11], s[26:27]
.LBB21_2:
	s_bfe_u32 s10, ttmp6, 0x4000c
	v_dual_lshrrev_b32 v1, 10, v0 :: v_dual_mov_b32 v3, 0
	s_add_co_i32 s10, s10, 1
	s_and_b32 s11, ttmp6, 15
	s_mul_i32 s10, ttmp9, s10
	s_delay_alu instid0(VALU_DEP_1)
	v_bfe_u32 v1, v1, 1, 9
	s_add_co_i32 s11, s11, s10
	s_cmp_eq_u32 s24, 0
	v_bfe_u32 v8, v0, 10, 10
	s_cselect_b32 s26, ttmp9, s11
	s_load_b96 s[40:42], s[0:1], 0x70
	v_lshl_add_u32 v42, s26, 2, v1
	s_delay_alu instid0(VALU_DEP_2) | instskip(SKIP_1) | instid1(VALU_DEP_3)
	v_dual_mov_b32 v25, v3 :: v_dual_lshlrev_b32 v9, 2, v8
	v_mul_u32_u24_e32 v45, 0x600, v8
	v_mul_hi_u32 v1, s20, v42
	s_delay_alu instid0(VALU_DEP_3) | instskip(NEXT) | instid1(VALU_DEP_2)
	v_and_b32_e32 v24, 4, v9
	v_add_nc_u32_e32 v1, v42, v1
	s_wait_kmcnt 0x0
	s_mul_i32 s20, s33, s41
	s_ashr_i32 s11, s41, 31
	s_delay_alu instid0(VALU_DEP_1)
	v_lshrrev_b32_e32 v1, s21, v1
	s_mov_b32 s10, s41
	s_ashr_i32 s41, s40, 31
	s_lshr_b64 s[10:11], s[10:11], 2
	s_lshr_b64 s[40:41], s[40:41], 2
	v_mul_lo_u32 v1, v1, s22
	v_mul_u64_e32 v[6:7], s[10:11], v[24:25]
	v_and_b32_e32 v25, 0x3ff, v0
	s_ashr_i32 s21, s20, 31
	s_delay_alu instid0(VALU_DEP_1) | instskip(SKIP_2) | instid1(VALU_DEP_1)
	v_dual_lshlrev_b32 v0, 4, v25 :: v_dual_lshlrev_b32 v44, 3, v25
	v_cmp_gt_u32_e32 vcc_lo, 16, v25
	v_dual_mov_b32 v1, v3 :: v_dual_sub_nc_u32 v2, v42, v1
	v_mul_u64_e32 v[4:5], s[40:41], v[2:3]
	s_mul_i32 s40, s2, s42
	s_delay_alu instid0(SALU_CYCLE_1) | instskip(NEXT) | instid1(SALU_CYCLE_1)
	s_ashr_i32 s41, s40, 31
	s_add_nc_u64 s[4:5], s[4:5], s[40:41]
	s_delay_alu instid0(SALU_CYCLE_1)
	s_add_nc_u64 s[4:5], s[4:5], s[20:21]
	s_delay_alu instid0(VALU_DEP_1) | instid1(SALU_CYCLE_1)
	v_lshl_add_u64 v[4:5], v[4:5], 2, s[4:5]
	s_load_b32 s4, s[0:1], 0x40
	s_delay_alu instid0(VALU_DEP_1) | instskip(NEXT) | instid1(VALU_DEP_1)
	v_add_nc_u64_e32 v[0:1], v[4:5], v[0:1]
	v_lshl_add_u64 v[4:5], v[6:7], 2, v[0:1]
	global_load_b128 v[10:13], v[4:5], off
	s_wait_kmcnt 0x0
	s_mov_b32 s5, s4
	s_wait_loadcnt 0x0
	v_fma_mixlo_f16 v14, s4, v10, 0
	v_mov_b32_e32 v10, v13
	s_delay_alu instid0(VALU_DEP_1) | instskip(NEXT) | instid1(VALU_DEP_3)
	v_pk_mul_f32 v[6:7], s[4:5], v[10:11] op_sel_hi:[0,1]
	v_and_b32_e32 v10, 0xffff, v14
	s_delay_alu instid0(VALU_DEP_2) | instskip(SKIP_1) | instid1(VALU_DEP_2)
	v_cvt_pk_f16_f32 v6, v6, v7
	v_fma_mixlo_f16 v7, s4, v12, 0
	v_and_b32_e32 v11, 0xffff0000, v6
	s_delay_alu instid0(VALU_DEP_2) | instskip(SKIP_1) | instid1(VALU_DEP_3)
	v_and_b32_e32 v7, 0xffff, v7
	v_lshlrev_b32_e32 v6, 16, v6
	v_or_b32_e32 v10, v11, v10
	v_mad_u32_u24 v11, 0x600, v8, v44
	s_delay_alu instid0(VALU_DEP_3) | instskip(NEXT) | instid1(VALU_DEP_3)
	v_or3_b32 v7, v6, v7, 0
	v_or3_b32 v6, 0, 0, v10
	ds_store_b64 v11, v[6:7]
	s_and_saveexec_b32 s20, vcc_lo
	s_cbranch_execz .LBB21_4
; %bb.3:
	global_load_b128 v[4:7], v[4:5], off offset:512
	v_mov_b64_e32 v[10:11], s[4:5]
	s_wait_loadcnt 0x0
	v_fma_mixlo_f16 v12, s4, v4, 0
	v_mov_b32_e32 v4, v7
	s_delay_alu instid0(VALU_DEP_1) | instskip(NEXT) | instid1(VALU_DEP_1)
	v_pk_mul_f32 v[4:5], v[10:11], v[4:5]
	v_cvt_pk_f16_f32 v4, v4, v5
	v_fma_mixlo_f16 v5, s4, v6, 0
	v_and_b32_e32 v6, 0xffff, v12
	s_delay_alu instid0(VALU_DEP_3) | instskip(NEXT) | instid1(VALU_DEP_3)
	v_and_b32_e32 v7, 0xffff0000, v4
	v_and_b32_e32 v5, 0xffff, v5
	s_delay_alu instid0(VALU_DEP_2) | instskip(NEXT) | instid1(VALU_DEP_1)
	v_dual_lshlrev_b32 v4, 16, v4 :: v_dual_bitop2_b32 v6, v7, v6 bitop3:0x54
	v_or3_b32 v5, v4, v5, 0
	s_delay_alu instid0(VALU_DEP_2)
	v_or3_b32 v4, 0, 0, v6
	v_add_nc_u32_e32 v6, v44, v45
	ds_store_b64 v6, v[4:5] offset:256
.LBB21_4:
	s_or_b32 exec_lo, exec_lo, s20
	v_bitop3_b32 v4, v9, 5, 1 bitop3:0xc8
	v_mov_b32_e32 v5, v3
	v_mov_b64_e32 v[6:7], s[4:5]
	s_delay_alu instid0(VALU_DEP_2) | instskip(NEXT) | instid1(VALU_DEP_1)
	v_mul_u64_e32 v[4:5], s[10:11], v[4:5]
	v_lshl_add_u64 v[4:5], v[4:5], 2, v[0:1]
	global_load_b128 v[10:13], v[4:5], off
	s_wait_loadcnt 0x0
	v_fma_mixlo_f16 v3, s4, v10, 0
	v_mov_b32_e32 v10, v13
	s_delay_alu instid0(VALU_DEP_2) | instskip(NEXT) | instid1(VALU_DEP_2)
	v_and_b32_e32 v3, 0xffff, v3
	v_pk_mul_f32 v[6:7], v[6:7], v[10:11]
	s_delay_alu instid0(VALU_DEP_1) | instskip(SKIP_2) | instid1(VALU_DEP_3)
	v_cvt_pk_f16_f32 v6, v6, v7
	v_fma_mixlo_f16 v7, s4, v12, 0
	v_or_b32_e32 v11, 1, v9
	v_and_b32_e32 v10, 0xffff0000, v6
	s_delay_alu instid0(VALU_DEP_3) | instskip(NEXT) | instid1(VALU_DEP_2)
	v_and_b32_e32 v7, 0xffff, v7
	v_dual_lshlrev_b32 v6, 16, v6 :: v_dual_bitop2_b32 v3, v10, v3 bitop3:0x54
	s_delay_alu instid0(VALU_DEP_4) | instskip(SKIP_1) | instid1(VALU_DEP_3)
	v_mul_u32_u24_e32 v10, 0x180, v11
	v_mad_u32_u24 v11, 0x180, v11, v44
	v_or3_b32 v7, v6, v7, 0
	s_delay_alu instid0(VALU_DEP_4) | instskip(NEXT) | instid1(VALU_DEP_4)
	v_or3_b32 v6, 0, 0, v3
	v_add_nc_u32_e32 v3, v44, v10
	ds_store_b64 v11, v[6:7]
	s_and_saveexec_b32 s20, vcc_lo
	s_cbranch_execz .LBB21_6
; %bb.5:
	global_load_b128 v[4:7], v[4:5], off offset:512
	v_mov_b64_e32 v[10:11], s[4:5]
	s_wait_loadcnt 0x0
	v_fma_mixlo_f16 v12, s4, v4, 0
	v_mov_b32_e32 v4, v7
	s_delay_alu instid0(VALU_DEP_1) | instskip(NEXT) | instid1(VALU_DEP_1)
	v_pk_mul_f32 v[4:5], v[10:11], v[4:5]
	v_cvt_pk_f16_f32 v4, v4, v5
	v_fma_mixlo_f16 v5, s4, v6, 0
	v_and_b32_e32 v6, 0xffff, v12
	s_delay_alu instid0(VALU_DEP_3) | instskip(NEXT) | instid1(VALU_DEP_3)
	v_and_b32_e32 v7, 0xffff0000, v4
	v_and_b32_e32 v5, 0xffff, v5
	s_delay_alu instid0(VALU_DEP_2) | instskip(NEXT) | instid1(VALU_DEP_1)
	v_dual_lshlrev_b32 v4, 16, v4 :: v_dual_bitop2_b32 v6, v7, v6 bitop3:0x54
	v_or3_b32 v5, v4, v5, 0
	s_delay_alu instid0(VALU_DEP_2)
	v_or3_b32 v4, 0, 0, v6
	ds_store_b64 v3, v[4:5] offset:256
.LBB21_6:
	s_or_b32 exec_lo, exec_lo, s20
	v_bitop3_b32 v4, v9, 6, 2 bitop3:0xc8
	v_mov_b32_e32 v5, 0
	v_mov_b64_e32 v[14:15], s[4:5]
	s_delay_alu instid0(VALU_DEP_2) | instskip(NEXT) | instid1(VALU_DEP_1)
	v_mul_u64_e32 v[6:7], s[10:11], v[4:5]
	v_lshl_add_u64 v[6:7], v[6:7], 2, v[0:1]
	global_load_b128 v[10:13], v[6:7], off
	s_wait_loadcnt 0x0
	v_fma_mixlo_f16 v4, s4, v10, 0
	v_mov_b32_e32 v10, v13
	s_delay_alu instid0(VALU_DEP_2) | instskip(NEXT) | instid1(VALU_DEP_2)
	v_and_b32_e32 v4, 0xffff, v4
	v_pk_mul_f32 v[10:11], v[14:15], v[10:11]
	s_delay_alu instid0(VALU_DEP_1) | instskip(SKIP_1) | instid1(VALU_DEP_2)
	v_cvt_pk_f16_f32 v10, v10, v11
	v_fma_mixlo_f16 v11, s4, v12, 0
	v_and_b32_e32 v12, 0xffff0000, v10
	s_delay_alu instid0(VALU_DEP_2) | instskip(NEXT) | instid1(VALU_DEP_2)
	v_and_b32_e32 v11, 0xffff, v11
	v_dual_lshlrev_b32 v10, 16, v10 :: v_dual_bitop2_b32 v4, v12, v4 bitop3:0x54
	s_delay_alu instid0(VALU_DEP_1) | instskip(NEXT) | instid1(VALU_DEP_2)
	v_or3_b32 v11, v10, v11, 0
	v_or3_b32 v10, 0, 0, v4
	ds_store_b64 v3, v[10:11] offset:384
	s_and_saveexec_b32 s20, vcc_lo
	s_cbranch_execz .LBB21_8
; %bb.7:
	global_load_b128 v[10:13], v[6:7], off offset:512
	s_wait_xcnt 0x0
	v_mov_b64_e32 v[6:7], s[4:5]
	s_wait_loadcnt 0x0
	v_fma_mixlo_f16 v4, s4, v10, 0
	v_mov_b32_e32 v10, v13
	s_delay_alu instid0(VALU_DEP_2) | instskip(NEXT) | instid1(VALU_DEP_2)
	v_and_b32_e32 v4, 0xffff, v4
	v_pk_mul_f32 v[6:7], v[6:7], v[10:11]
	s_delay_alu instid0(VALU_DEP_1) | instskip(SKIP_1) | instid1(VALU_DEP_2)
	v_cvt_pk_f16_f32 v6, v6, v7
	v_fma_mixlo_f16 v7, s4, v12, 0
	v_and_b32_e32 v10, 0xffff0000, v6
	s_delay_alu instid0(VALU_DEP_2) | instskip(NEXT) | instid1(VALU_DEP_2)
	v_and_b32_e32 v7, 0xffff, v7
	v_dual_lshlrev_b32 v6, 16, v6 :: v_dual_bitop2_b32 v4, v10, v4 bitop3:0x54
	s_delay_alu instid0(VALU_DEP_1) | instskip(NEXT) | instid1(VALU_DEP_2)
	v_or3_b32 v7, v6, v7, 0
	v_or3_b32 v6, 0, 0, v4
	ds_store_b64 v3, v[6:7] offset:640
.LBB21_8:
	s_or_b32 exec_lo, exec_lo, s20
	v_bitop3_b32 v4, v9, 7, 3 bitop3:0xc8
	v_mov_b64_e32 v[10:11], s[4:5]
	s_delay_alu instid0(VALU_DEP_2) | instskip(NEXT) | instid1(VALU_DEP_1)
	v_mul_u64_e32 v[4:5], s[10:11], v[4:5]
	v_lshl_add_u64 v[0:1], v[4:5], 2, v[0:1]
	global_load_b128 v[4:7], v[0:1], off
	s_wait_loadcnt 0x0
	v_fma_mixlo_f16 v12, s4, v4, 0
	v_mov_b32_e32 v4, v7
	s_delay_alu instid0(VALU_DEP_1) | instskip(NEXT) | instid1(VALU_DEP_1)
	v_pk_mul_f32 v[4:5], v[10:11], v[4:5]
	v_cvt_pk_f16_f32 v4, v4, v5
	v_fma_mixlo_f16 v5, s4, v6, 0
	v_and_b32_e32 v6, 0xffff, v12
	s_delay_alu instid0(VALU_DEP_3) | instskip(NEXT) | instid1(VALU_DEP_3)
	v_and_b32_e32 v7, 0xffff0000, v4
	v_and_b32_e32 v5, 0xffff, v5
	s_delay_alu instid0(VALU_DEP_2) | instskip(NEXT) | instid1(VALU_DEP_1)
	v_dual_lshlrev_b32 v4, 16, v4 :: v_dual_bitop2_b32 v6, v7, v6 bitop3:0x54
	v_or3_b32 v5, v4, v5, 0
	s_delay_alu instid0(VALU_DEP_2)
	v_or3_b32 v4, 0, 0, v6
	ds_store_b64 v3, v[4:5] offset:768
	s_and_saveexec_b32 s10, vcc_lo
	s_cbranch_execz .LBB21_10
; %bb.9:
	global_load_b128 v[4:7], v[0:1], off offset:512
	s_wait_xcnt 0x0
	v_mov_b64_e32 v[0:1], s[4:5]
	s_wait_loadcnt 0x0
	v_fma_mixlo_f16 v10, s4, v4, 0
	v_mov_b32_e32 v4, v7
	s_delay_alu instid0(VALU_DEP_1) | instskip(NEXT) | instid1(VALU_DEP_3)
	v_pk_mul_f32 v[0:1], v[0:1], v[4:5]
	v_and_b32_e32 v4, 0xffff, v10
	s_delay_alu instid0(VALU_DEP_2) | instskip(SKIP_1) | instid1(VALU_DEP_2)
	v_cvt_pk_f16_f32 v0, v0, v1
	v_fma_mixlo_f16 v1, s4, v6, 0
	v_and_b32_e32 v5, 0xffff0000, v0
	s_delay_alu instid0(VALU_DEP_2) | instskip(SKIP_1) | instid1(VALU_DEP_3)
	v_and_b32_e32 v1, 0xffff, v1
	v_lshlrev_b32_e32 v0, 16, v0
	v_or_b32_e32 v4, v5, v4
	s_delay_alu instid0(VALU_DEP_2) | instskip(NEXT) | instid1(VALU_DEP_2)
	v_or3_b32 v1, v0, v1, 0
	v_or3_b32 v0, 0, 0, v4
	ds_store_b64 v3, v[0:1] offset:1024
.LBB21_10:
	s_or_b32 exec_lo, exec_lo, s10
	s_cmp_eq_u64 s[14:15], 0
	s_wait_dscnt 0x0
	s_barrier_signal -1
	s_barrier_wait -1
	s_cbranch_scc1 .LBB21_12
; %bb.11:
	s_load_b32 s4, s[0:1], 0xd0
	s_wait_kmcnt 0x0
	s_mul_i32 s4, s4, s2
	s_delay_alu instid0(SALU_CYCLE_1)
	s_add_co_i32 s4, s4, s26
	s_load_b32 s28, s[14:15], s4 offset:0x0 scale_offset
.LBB21_12:
	s_wait_xcnt 0x0
	s_bfe_u32 s4, ttmp6, 0x40010
	s_and_b32 s5, ttmp7, 0xffff
	s_add_co_i32 s4, s4, 1
	s_bfe_u32 s10, ttmp6, 0x40004
	s_mul_i32 s4, s5, s4
	v_mbcnt_lo_u32_b32 v46, -1, 0
	s_add_co_i32 s10, s10, s4
	s_cmp_eq_u32 s24, 0
	s_cselect_b32 s29, s5, s10
	s_mov_b32 s5, 0
	s_lshl_b32 s4, s29, 6
	s_wait_kmcnt 0x0
	s_cmp_lt_i32 s4, s28
	s_cbranch_scc1 .LBB21_15
; %bb.13:
	v_mbcnt_lo_u32_b32 v4, -1, 0
	s_delay_alu instid0(VALU_DEP_1)
	v_dual_mov_b32 v47, 32 :: v_dual_bitop2_b32 v59, 16, v4 bitop3:0x14
	v_xor_b32_e32 v58, 8, v4
	v_xor_b32_e32 v57, 4, v4
	;; [unrolled: 1-line block ×3, first 2 shown]
	v_dual_lshlrev_b32 v43, 2, v25 :: v_dual_bitop2_b32 v55, 1, v4 bitop3:0x14
	s_and_not1_b32 vcc_lo, exec_lo, s5
	s_cbranch_vccz .LBB21_16
; %bb.14:
	v_dual_mov_b32 v14, 0 :: v_dual_mov_b32 v27, 0
	v_dual_mov_b32 v3, 0xfeffffff :: v_dual_mov_b32 v2, 0xfeffffff
	;; [unrolled: 1-line block ×3, first 2 shown]
	s_delay_alu instid0(VALU_DEP_3)
	v_dual_mov_b32 v26, v27 :: v_dual_mov_b32 v29, v27
	v_dual_mov_b32 v28, v27 :: v_dual_mov_b32 v19, 0
	;; [unrolled: 1-line block ×5, first 2 shown]
	s_branch .LBB21_52
.LBB21_15:
                                        ; implicit-def: $vgpr4
                                        ; implicit-def: $vgpr47
                                        ; implicit-def: $vgpr59
                                        ; implicit-def: $vgpr58
                                        ; implicit-def: $vgpr57
                                        ; implicit-def: $vgpr56
                                        ; implicit-def: $vgpr55
	v_lshlrev_b32_e32 v43, 2, v25
.LBB21_16:
	s_mul_f32 s5, s25, 0x4f7ffffe
	s_clause 0x1
	s_load_b128 s[24:27], s[0:1], 0x98
	s_load_b64 s[14:15], s[0:1], 0x8c
	s_sub_co_i32 s10, 0, s38
	s_ashr_i32 s39, s3, 31
	s_cvt_u32_f32 s5, s5
	v_dual_lshrrev_b32 v0, 3, v25 :: v_dual_lshrrev_b32 v3, 4, v25
	s_abs_i32 s34, s33
	s_delay_alu instid0(SALU_CYCLE_1)
	s_mul_i32 s10, s10, s5
	s_mov_b32 s11, s35
	s_mul_hi_u32 s3, s5, s10
	v_dual_add_nc_u32 v1, v0, v9 :: v_dual_bitop2_b32 v0, 28, v43 bitop3:0x40
	s_add_co_i32 s10, s5, s3
	v_lshl_add_u32 v3, v8, 1, v3
	s_mul_u64 s[10:11], s[34:35], s[10:11]
	s_ashr_i32 s36, s33, 31
	s_mul_i32 s5, s11, s38
	s_ashr_i32 s37, s37, 1
	s_sub_co_i32 s5, s34, s5
	s_wait_kmcnt 0x0
	s_ashr_i32 s10, s26, 2
	s_ashr_i32 s14, s14, 2
	s_ashr_i32 s3, s2, 31
	s_xor_b32 s35, s36, s39
	s_add_co_i32 s26, s11, 1
	s_sub_co_i32 s34, s5, s38
	v_mul_lo_u32 v30, s14, v1
	v_mul_lo_u32 v6, s10, v3
	s_load_b64 s[20:21], s[0:1], 0xa8
	s_cmp_ge_u32 s5, s38
	v_dual_lshlrev_b32 v5, 2, v0 :: v_dual_mov_b32 v33, 0
	s_cselect_b32 s11, s26, s11
	s_cselect_b32 s5, s34, s5
	s_add_co_i32 s26, s11, 1
	s_cmp_ge_u32 s5, s38
	s_delay_alu instid0(VALU_DEP_3)
	v_dual_ashrrev_i32 v31, 31, v30 :: v_dual_bitop2_b32 v4, 60, v43 bitop3:0x40
	s_cselect_b32 s5, s26, s11
	s_load_b32 s26, s[0:1], 0x54
	v_mad_u32_u24 v1, 0x90, v1, v5
	v_lshl_add_u32 v34, s14, 5, v30
	v_lshlrev_b32_e32 v5, 2, v4
	v_mad_u32 v51, v2, s37, v25
	v_lshl_add_u32 v2, s10, 4, v6
	v_dual_mov_b32 v37, v33 :: v_dual_add_nc_u32 v48, 0x3000, v1
	v_dual_mov_b32 v16, v33 :: v_dual_add_nc_u32 v49, 0x4200, v1
	v_ashrrev_i32_e32 v35, 31, v34
	v_lshl_or_b32 v1, v3, 8, v5
	v_dual_ashrrev_i32 v7, 31, v6 :: v_dual_lshlrev_b32 v36, 2, v0
	v_dual_ashrrev_i32 v3, 31, v2 :: v_dual_lshlrev_b32 v32, 2, v4
	s_xor_b32 s5, s5, s35
	s_mul_u64 s[24:25], s[24:25], s[2:3]
	s_sub_co_i32 s5, s5, s35
	s_wait_kmcnt 0x0
	s_mul_u64 s[20:21], s[20:21], s[2:3]
	s_movk_i32 s3, 0x3000
	v_lshlrev_b64_e32 v[38:39], 2, v[6:7]
	v_lshlrev_b64_e32 v[40:41], 2, v[2:3]
	s_mul_i32 s34, s5, s15
	s_add_nc_u64 s[6:7], s[6:7], s[24:25]
	s_mul_i32 s24, s5, s27
	v_mad_u32_u24 v50, 0x90, v25, s3
	v_lshl_add_u32 v52, v8, 9, 0x5400
	v_dual_mov_b32 v12, v33 :: v_dual_add_nc_u32 v53, 0x3000, v1
	v_dual_mov_b32 v47, 32 :: v_dual_add_nc_u32 v54, 0x4000, v1
	v_dual_mov_b32 v21, 0xfeffffff :: v_dual_mov_b32 v18, v33
	v_dual_mov_b32 v15, v33 :: v_dual_mov_b32 v17, v33
	;; [unrolled: 1-line block ×7, first 2 shown]
	s_ashr_i32 s35, s34, 31
	s_add_nc_u64 s[8:9], s[8:9], s[20:21]
	s_ashr_i32 s25, s24, 31
	s_add_nc_u64 s[6:7], s[6:7], s[34:35]
	s_add_nc_u64 s[8:9], s[8:9], s[24:25]
	s_ashr_i32 s15, s14, 31
	s_ashr_i32 s11, s10, 31
	s_add_nc_u64 s[20:21], s[0:1], 0xd0
	s_mov_b32 s3, 0xbbbac73d
.LBB21_17:                              ; =>This Inner Loop Header: Depth=1
	s_ashr_i32 s5, s4, 31
	v_mov_b32_e32 v77, 0
	s_mul_u64 s[24:25], s[4:5], s[14:15]
	v_mov_b32_e32 v78, 0
	s_lshl_b64 s[24:25], s[24:25], 2
	s_delay_alu instid0(SALU_CYCLE_1) | instskip(NEXT) | instid1(SALU_CYCLE_1)
	s_add_nc_u64 s[24:25], s[6:7], s[24:25]
	v_lshl_add_u64 v[0:1], v[30:31], 2, s[24:25]
	v_lshl_add_u64 v[2:3], v[34:35], 2, s[24:25]
	s_delay_alu instid0(VALU_DEP_2) | instskip(NEXT) | instid1(VALU_DEP_2)
	v_add_nc_u64_e32 v[0:1], v[0:1], v[36:37]
	v_add_nc_u64_e32 v[2:3], v[2:3], v[36:37]
	s_clause 0x1
	global_load_b128 v[4:7], v[0:1], off
	global_load_b128 v[8:11], v[2:3], off
	s_wait_loadcnt 0x1
	ds_store_b128 v48, v[4:7]
	s_wait_loadcnt 0x0
	ds_store_b128 v49, v[8:11]
	s_wait_dscnt 0x0
	s_barrier_signal -1
	s_barrier_wait -1
	ds_load_b128 v[56:59], v50
	ds_load_b128 v[60:63], v45
	ds_load_b128 v[64:67], v45 offset:384
	ds_load_b128 v[68:71], v45 offset:768
	v_dual_mov_b32 v6, 0 :: v_dual_mov_b32 v10, 0
	ds_load_b128 v[72:75], v45 offset:1152
	ds_load_b128 v[80:83], v50 offset:4608
	v_dual_mov_b32 v8, 0 :: v_dual_mov_b32 v7, 0
	v_dual_mov_b32 v11, 0 :: v_dual_mov_b32 v9, 0
	s_wait_dscnt 0x4
	;;#ASMSTART
	v_dot2_f32_f16 v6, v56, v60, v6
	;;#ASMEND
	;;#ASMSTART
	v_dot2_f32_f16 v6, v57, v61, v6
	;;#ASMEND
	;;#ASMSTART
	v_dot2_f32_f16 v6, v58, v62, v6
	;;#ASMEND
	;;#ASMSTART
	v_dot2_f32_f16 v6, v59, v63, v6
	;;#ASMEND
	s_wait_dscnt 0x3
	;;#ASMSTART
	v_dot2_f32_f16 v10, v56, v64, v10
	;;#ASMEND
	;;#ASMSTART
	v_dot2_f32_f16 v10, v57, v65, v10
	;;#ASMEND
	;;#ASMSTART
	v_dot2_f32_f16 v10, v58, v66, v10
	;;#ASMEND
	;;#ASMSTART
	v_dot2_f32_f16 v10, v59, v67, v10
	;;#ASMEND
	;; [unrolled: 13-line block ×5, first 2 shown]
	;;#ASMSTART
	v_dot2_f32_f16 v11, v80, v64, v11
	;;#ASMEND
	;;#ASMSTART
	v_dot2_f32_f16 v11, v81, v65, v11
	;;#ASMEND
	;; [unrolled: 3-line block ×12, first 2 shown]
	ds_load_b128 v[56:59], v50 offset:16
	ds_load_b128 v[60:63], v45 offset:16
	;; [unrolled: 1-line block ×6, first 2 shown]
	s_wait_dscnt 0x4
	;;#ASMSTART
	v_dot2_f32_f16 v6, v56, v60, v6
	;;#ASMEND
	;;#ASMSTART
	v_dot2_f32_f16 v6, v57, v61, v6
	;;#ASMEND
	;;#ASMSTART
	v_dot2_f32_f16 v6, v58, v62, v6
	;;#ASMEND
	;;#ASMSTART
	v_dot2_f32_f16 v6, v59, v63, v6
	;;#ASMEND
	s_wait_dscnt 0x3
	;;#ASMSTART
	v_dot2_f32_f16 v10, v56, v64, v10
	;;#ASMEND
	;;#ASMSTART
	v_dot2_f32_f16 v10, v57, v65, v10
	;;#ASMEND
	;;#ASMSTART
	v_dot2_f32_f16 v10, v58, v66, v10
	;;#ASMEND
	;;#ASMSTART
	v_dot2_f32_f16 v10, v59, v67, v10
	;;#ASMEND
	;; [unrolled: 13-line block ×5, first 2 shown]
	;;#ASMSTART
	v_dot2_f32_f16 v11, v80, v64, v11
	;;#ASMEND
	;;#ASMSTART
	v_dot2_f32_f16 v11, v81, v65, v11
	;;#ASMEND
	;; [unrolled: 3-line block ×12, first 2 shown]
	ds_load_b128 v[56:59], v50 offset:32
	ds_load_b128 v[60:63], v45 offset:32
	;; [unrolled: 1-line block ×6, first 2 shown]
	s_wait_dscnt 0x4
	;;#ASMSTART
	v_dot2_f32_f16 v6, v56, v60, v6
	;;#ASMEND
	;;#ASMSTART
	v_dot2_f32_f16 v6, v57, v61, v6
	;;#ASMEND
	;;#ASMSTART
	v_dot2_f32_f16 v6, v58, v62, v6
	;;#ASMEND
	;;#ASMSTART
	v_dot2_f32_f16 v6, v59, v63, v6
	;;#ASMEND
	s_wait_dscnt 0x3
	;;#ASMSTART
	v_dot2_f32_f16 v10, v56, v64, v10
	;;#ASMEND
	;;#ASMSTART
	v_dot2_f32_f16 v10, v57, v65, v10
	;;#ASMEND
	;;#ASMSTART
	v_dot2_f32_f16 v10, v58, v66, v10
	;;#ASMEND
	;;#ASMSTART
	v_dot2_f32_f16 v10, v59, v67, v10
	;;#ASMEND
	;; [unrolled: 13-line block ×5, first 2 shown]
	;;#ASMSTART
	v_dot2_f32_f16 v11, v80, v64, v11
	;;#ASMEND
	;;#ASMSTART
	v_dot2_f32_f16 v11, v81, v65, v11
	;;#ASMEND
	;; [unrolled: 3-line block ×12, first 2 shown]
	ds_load_b128 v[56:59], v50 offset:48
	ds_load_b128 v[60:63], v45 offset:48
	;; [unrolled: 1-line block ×6, first 2 shown]
	s_wait_dscnt 0x4
	;;#ASMSTART
	v_dot2_f32_f16 v6, v56, v60, v6
	;;#ASMEND
	;;#ASMSTART
	v_dot2_f32_f16 v6, v57, v61, v6
	;;#ASMEND
	;;#ASMSTART
	v_dot2_f32_f16 v6, v58, v62, v6
	;;#ASMEND
	;;#ASMSTART
	v_dot2_f32_f16 v6, v59, v63, v6
	;;#ASMEND
	s_wait_dscnt 0x3
	;;#ASMSTART
	v_dot2_f32_f16 v10, v56, v64, v10
	;;#ASMEND
	;;#ASMSTART
	v_dot2_f32_f16 v10, v57, v65, v10
	;;#ASMEND
	;;#ASMSTART
	v_dot2_f32_f16 v10, v58, v66, v10
	;;#ASMEND
	;;#ASMSTART
	v_dot2_f32_f16 v10, v59, v67, v10
	;;#ASMEND
	;; [unrolled: 13-line block ×5, first 2 shown]
	;;#ASMSTART
	v_dot2_f32_f16 v11, v80, v64, v11
	;;#ASMEND
	;;#ASMSTART
	v_dot2_f32_f16 v11, v81, v65, v11
	;;#ASMEND
	;; [unrolled: 3-line block ×12, first 2 shown]
	ds_load_b128 v[56:59], v50 offset:64
	ds_load_b128 v[60:63], v45 offset:64
	ds_load_b128 v[64:67], v45 offset:448
	ds_load_b128 v[68:71], v45 offset:832
	ds_load_b128 v[72:75], v45 offset:1216
	ds_load_b128 v[80:83], v50 offset:4672
	s_wait_dscnt 0x4
	;;#ASMSTART
	v_dot2_f32_f16 v6, v56, v60, v6
	;;#ASMEND
	;;#ASMSTART
	v_dot2_f32_f16 v6, v57, v61, v6
	;;#ASMEND
	;;#ASMSTART
	v_dot2_f32_f16 v6, v58, v62, v6
	;;#ASMEND
	;;#ASMSTART
	v_dot2_f32_f16 v6, v59, v63, v6
	;;#ASMEND
	s_wait_dscnt 0x3
	;;#ASMSTART
	v_dot2_f32_f16 v10, v56, v64, v10
	;;#ASMEND
	;;#ASMSTART
	v_dot2_f32_f16 v10, v57, v65, v10
	;;#ASMEND
	;;#ASMSTART
	v_dot2_f32_f16 v10, v58, v66, v10
	;;#ASMEND
	;;#ASMSTART
	v_dot2_f32_f16 v10, v59, v67, v10
	;;#ASMEND
	;; [unrolled: 13-line block ×5, first 2 shown]
	;;#ASMSTART
	v_dot2_f32_f16 v11, v80, v64, v11
	;;#ASMEND
	;;#ASMSTART
	v_dot2_f32_f16 v11, v81, v65, v11
	;;#ASMEND
	;; [unrolled: 3-line block ×12, first 2 shown]
	ds_load_b128 v[56:59], v50 offset:80
	ds_load_b128 v[60:63], v45 offset:80
	;; [unrolled: 1-line block ×6, first 2 shown]
	s_wait_dscnt 0x4
	;;#ASMSTART
	v_dot2_f32_f16 v6, v56, v60, v6
	;;#ASMEND
	;;#ASMSTART
	v_dot2_f32_f16 v6, v57, v61, v6
	;;#ASMEND
	;;#ASMSTART
	v_dot2_f32_f16 v6, v58, v62, v6
	;;#ASMEND
	;;#ASMSTART
	v_dot2_f32_f16 v6, v59, v63, v6
	;;#ASMEND
	s_wait_dscnt 0x3
	;;#ASMSTART
	v_dot2_f32_f16 v10, v56, v64, v10
	;;#ASMEND
	;;#ASMSTART
	v_dot2_f32_f16 v10, v57, v65, v10
	;;#ASMEND
	;;#ASMSTART
	v_dot2_f32_f16 v10, v58, v66, v10
	;;#ASMEND
	;;#ASMSTART
	v_dot2_f32_f16 v10, v59, v67, v10
	;;#ASMEND
	;; [unrolled: 13-line block ×5, first 2 shown]
	;;#ASMSTART
	v_dot2_f32_f16 v11, v80, v64, v11
	;;#ASMEND
	;;#ASMSTART
	v_dot2_f32_f16 v11, v81, v65, v11
	;;#ASMEND
	;; [unrolled: 3-line block ×12, first 2 shown]
	ds_load_b128 v[56:59], v50 offset:96
	ds_load_b128 v[60:63], v45 offset:96
	;; [unrolled: 1-line block ×6, first 2 shown]
	s_wait_dscnt 0x4
	;;#ASMSTART
	v_dot2_f32_f16 v6, v56, v60, v6
	;;#ASMEND
	;;#ASMSTART
	v_dot2_f32_f16 v6, v57, v61, v6
	;;#ASMEND
	;;#ASMSTART
	v_dot2_f32_f16 v6, v58, v62, v6
	;;#ASMEND
	;;#ASMSTART
	v_dot2_f32_f16 v6, v59, v63, v6
	;;#ASMEND
	s_wait_dscnt 0x3
	;;#ASMSTART
	v_dot2_f32_f16 v10, v56, v64, v10
	;;#ASMEND
	;;#ASMSTART
	v_dot2_f32_f16 v10, v57, v65, v10
	;;#ASMEND
	;;#ASMSTART
	v_dot2_f32_f16 v10, v58, v66, v10
	;;#ASMEND
	;;#ASMSTART
	v_dot2_f32_f16 v10, v59, v67, v10
	;;#ASMEND
	;; [unrolled: 13-line block ×5, first 2 shown]
	;;#ASMSTART
	v_dot2_f32_f16 v11, v80, v64, v11
	;;#ASMEND
	;;#ASMSTART
	v_dot2_f32_f16 v11, v81, v65, v11
	;;#ASMEND
	;; [unrolled: 3-line block ×12, first 2 shown]
	ds_load_b128 v[56:59], v50 offset:112
	ds_load_b128 v[60:63], v45 offset:112
	;; [unrolled: 1-line block ×6, first 2 shown]
	s_wait_dscnt 0x4
	;;#ASMSTART
	v_dot2_f32_f16 v6, v56, v60, v6
	;;#ASMEND
	;;#ASMSTART
	v_dot2_f32_f16 v6, v57, v61, v6
	;;#ASMEND
	;;#ASMSTART
	v_dot2_f32_f16 v6, v58, v62, v6
	;;#ASMEND
	;;#ASMSTART
	v_dot2_f32_f16 v6, v59, v63, v6
	;;#ASMEND
	s_wait_dscnt 0x3
	;;#ASMSTART
	v_dot2_f32_f16 v10, v56, v64, v10
	;;#ASMEND
	;;#ASMSTART
	v_dot2_f32_f16 v10, v57, v65, v10
	;;#ASMEND
	;;#ASMSTART
	v_dot2_f32_f16 v10, v58, v66, v10
	;;#ASMEND
	;;#ASMSTART
	v_dot2_f32_f16 v10, v59, v67, v10
	;;#ASMEND
	;; [unrolled: 13-line block ×5, first 2 shown]
	;;#ASMSTART
	v_dot2_f32_f16 v11, v80, v64, v11
	;;#ASMEND
	;;#ASMSTART
	v_dot2_f32_f16 v11, v81, v65, v11
	;;#ASMEND
	;; [unrolled: 3-line block ×12, first 2 shown]
	s_barrier_signal -1
	s_barrier_wait -1
	s_clause 0x1
	global_load_b128 v[56:59], v[0:1], off offset:128
	global_load_b128 v[60:63], v[2:3], off offset:128
	s_wait_loadcnt 0x1
	ds_store_b128 v48, v[56:59]
	s_wait_loadcnt 0x0
	ds_store_b128 v49, v[60:63]
	s_wait_dscnt 0x0
	s_barrier_signal -1
	s_barrier_wait -1
	ds_load_b128 v[56:59], v50
	ds_load_b128 v[60:63], v45 offset:128
	ds_load_b128 v[64:67], v45 offset:512
	;; [unrolled: 1-line block ×5, first 2 shown]
	s_wait_dscnt 0x4
	;;#ASMSTART
	v_dot2_f32_f16 v6, v56, v60, v6
	;;#ASMEND
	;;#ASMSTART
	v_dot2_f32_f16 v6, v57, v61, v6
	;;#ASMEND
	;;#ASMSTART
	v_dot2_f32_f16 v6, v58, v62, v6
	;;#ASMEND
	;;#ASMSTART
	v_dot2_f32_f16 v6, v59, v63, v6
	;;#ASMEND
	s_wait_dscnt 0x3
	;;#ASMSTART
	v_dot2_f32_f16 v10, v56, v64, v10
	;;#ASMEND
	;;#ASMSTART
	v_dot2_f32_f16 v10, v57, v65, v10
	;;#ASMEND
	;;#ASMSTART
	v_dot2_f32_f16 v10, v58, v66, v10
	;;#ASMEND
	;;#ASMSTART
	v_dot2_f32_f16 v10, v59, v67, v10
	;;#ASMEND
	;; [unrolled: 13-line block ×5, first 2 shown]
	;;#ASMSTART
	v_dot2_f32_f16 v11, v80, v64, v11
	;;#ASMEND
	;;#ASMSTART
	v_dot2_f32_f16 v11, v81, v65, v11
	;;#ASMEND
	;; [unrolled: 3-line block ×12, first 2 shown]
	ds_load_b128 v[56:59], v50 offset:16
	ds_load_b128 v[60:63], v45 offset:144
	;; [unrolled: 1-line block ×6, first 2 shown]
	s_wait_dscnt 0x4
	;;#ASMSTART
	v_dot2_f32_f16 v6, v56, v60, v6
	;;#ASMEND
	;;#ASMSTART
	v_dot2_f32_f16 v6, v57, v61, v6
	;;#ASMEND
	;;#ASMSTART
	v_dot2_f32_f16 v6, v58, v62, v6
	;;#ASMEND
	;;#ASMSTART
	v_dot2_f32_f16 v6, v59, v63, v6
	;;#ASMEND
	s_wait_dscnt 0x3
	;;#ASMSTART
	v_dot2_f32_f16 v10, v56, v64, v10
	;;#ASMEND
	;;#ASMSTART
	v_dot2_f32_f16 v10, v57, v65, v10
	;;#ASMEND
	;;#ASMSTART
	v_dot2_f32_f16 v10, v58, v66, v10
	;;#ASMEND
	;;#ASMSTART
	v_dot2_f32_f16 v10, v59, v67, v10
	;;#ASMEND
	;; [unrolled: 13-line block ×5, first 2 shown]
	;;#ASMSTART
	v_dot2_f32_f16 v11, v80, v64, v11
	;;#ASMEND
	;;#ASMSTART
	v_dot2_f32_f16 v11, v81, v65, v11
	;;#ASMEND
	;; [unrolled: 3-line block ×12, first 2 shown]
	ds_load_b128 v[56:59], v50 offset:32
	ds_load_b128 v[60:63], v45 offset:160
	;; [unrolled: 1-line block ×6, first 2 shown]
	s_wait_dscnt 0x4
	;;#ASMSTART
	v_dot2_f32_f16 v6, v56, v60, v6
	;;#ASMEND
	;;#ASMSTART
	v_dot2_f32_f16 v6, v57, v61, v6
	;;#ASMEND
	;;#ASMSTART
	v_dot2_f32_f16 v6, v58, v62, v6
	;;#ASMEND
	;;#ASMSTART
	v_dot2_f32_f16 v6, v59, v63, v6
	;;#ASMEND
	s_wait_dscnt 0x3
	;;#ASMSTART
	v_dot2_f32_f16 v10, v56, v64, v10
	;;#ASMEND
	;;#ASMSTART
	v_dot2_f32_f16 v10, v57, v65, v10
	;;#ASMEND
	;;#ASMSTART
	v_dot2_f32_f16 v10, v58, v66, v10
	;;#ASMEND
	;;#ASMSTART
	v_dot2_f32_f16 v10, v59, v67, v10
	;;#ASMEND
	;; [unrolled: 13-line block ×5, first 2 shown]
	;;#ASMSTART
	v_dot2_f32_f16 v11, v80, v64, v11
	;;#ASMEND
	;;#ASMSTART
	v_dot2_f32_f16 v11, v81, v65, v11
	;;#ASMEND
	;; [unrolled: 3-line block ×12, first 2 shown]
	ds_load_b128 v[56:59], v50 offset:48
	ds_load_b128 v[60:63], v45 offset:176
	;; [unrolled: 1-line block ×6, first 2 shown]
	s_wait_dscnt 0x4
	;;#ASMSTART
	v_dot2_f32_f16 v6, v56, v60, v6
	;;#ASMEND
	;;#ASMSTART
	v_dot2_f32_f16 v6, v57, v61, v6
	;;#ASMEND
	;;#ASMSTART
	v_dot2_f32_f16 v6, v58, v62, v6
	;;#ASMEND
	;;#ASMSTART
	v_dot2_f32_f16 v6, v59, v63, v6
	;;#ASMEND
	s_wait_dscnt 0x3
	;;#ASMSTART
	v_dot2_f32_f16 v10, v56, v64, v10
	;;#ASMEND
	;;#ASMSTART
	v_dot2_f32_f16 v10, v57, v65, v10
	;;#ASMEND
	;;#ASMSTART
	v_dot2_f32_f16 v10, v58, v66, v10
	;;#ASMEND
	;;#ASMSTART
	v_dot2_f32_f16 v10, v59, v67, v10
	;;#ASMEND
	;; [unrolled: 13-line block ×5, first 2 shown]
	;;#ASMSTART
	v_dot2_f32_f16 v11, v80, v64, v11
	;;#ASMEND
	;;#ASMSTART
	v_dot2_f32_f16 v11, v81, v65, v11
	;;#ASMEND
	;; [unrolled: 3-line block ×12, first 2 shown]
	ds_load_b128 v[56:59], v50 offset:64
	ds_load_b128 v[60:63], v45 offset:192
	;; [unrolled: 1-line block ×6, first 2 shown]
	s_wait_dscnt 0x4
	;;#ASMSTART
	v_dot2_f32_f16 v6, v56, v60, v6
	;;#ASMEND
	;;#ASMSTART
	v_dot2_f32_f16 v6, v57, v61, v6
	;;#ASMEND
	;;#ASMSTART
	v_dot2_f32_f16 v6, v58, v62, v6
	;;#ASMEND
	;;#ASMSTART
	v_dot2_f32_f16 v6, v59, v63, v6
	;;#ASMEND
	s_wait_dscnt 0x3
	;;#ASMSTART
	v_dot2_f32_f16 v10, v56, v64, v10
	;;#ASMEND
	;;#ASMSTART
	v_dot2_f32_f16 v10, v57, v65, v10
	;;#ASMEND
	;;#ASMSTART
	v_dot2_f32_f16 v10, v58, v66, v10
	;;#ASMEND
	;;#ASMSTART
	v_dot2_f32_f16 v10, v59, v67, v10
	;;#ASMEND
	;; [unrolled: 13-line block ×5, first 2 shown]
	;;#ASMSTART
	v_dot2_f32_f16 v11, v80, v64, v11
	;;#ASMEND
	;;#ASMSTART
	v_dot2_f32_f16 v11, v81, v65, v11
	;;#ASMEND
	;; [unrolled: 3-line block ×12, first 2 shown]
	ds_load_b128 v[56:59], v50 offset:80
	ds_load_b128 v[60:63], v45 offset:208
	;; [unrolled: 1-line block ×6, first 2 shown]
	s_wait_dscnt 0x4
	;;#ASMSTART
	v_dot2_f32_f16 v6, v56, v60, v6
	;;#ASMEND
	;;#ASMSTART
	v_dot2_f32_f16 v6, v57, v61, v6
	;;#ASMEND
	;;#ASMSTART
	v_dot2_f32_f16 v6, v58, v62, v6
	;;#ASMEND
	;;#ASMSTART
	v_dot2_f32_f16 v6, v59, v63, v6
	;;#ASMEND
	s_wait_dscnt 0x3
	;;#ASMSTART
	v_dot2_f32_f16 v10, v56, v64, v10
	;;#ASMEND
	;;#ASMSTART
	v_dot2_f32_f16 v10, v57, v65, v10
	;;#ASMEND
	;;#ASMSTART
	v_dot2_f32_f16 v10, v58, v66, v10
	;;#ASMEND
	;;#ASMSTART
	v_dot2_f32_f16 v10, v59, v67, v10
	;;#ASMEND
	;; [unrolled: 13-line block ×5, first 2 shown]
	;;#ASMSTART
	v_dot2_f32_f16 v11, v80, v64, v11
	;;#ASMEND
	;;#ASMSTART
	v_dot2_f32_f16 v11, v81, v65, v11
	;;#ASMEND
	;; [unrolled: 3-line block ×12, first 2 shown]
	ds_load_b128 v[56:59], v50 offset:96
	ds_load_b128 v[60:63], v45 offset:224
	;; [unrolled: 1-line block ×6, first 2 shown]
	s_wait_dscnt 0x4
	;;#ASMSTART
	v_dot2_f32_f16 v6, v56, v60, v6
	;;#ASMEND
	;;#ASMSTART
	v_dot2_f32_f16 v6, v57, v61, v6
	;;#ASMEND
	;;#ASMSTART
	v_dot2_f32_f16 v6, v58, v62, v6
	;;#ASMEND
	;;#ASMSTART
	v_dot2_f32_f16 v6, v59, v63, v6
	;;#ASMEND
	s_wait_dscnt 0x3
	;;#ASMSTART
	v_dot2_f32_f16 v10, v56, v64, v10
	;;#ASMEND
	;;#ASMSTART
	v_dot2_f32_f16 v10, v57, v65, v10
	;;#ASMEND
	;;#ASMSTART
	v_dot2_f32_f16 v10, v58, v66, v10
	;;#ASMEND
	;;#ASMSTART
	v_dot2_f32_f16 v10, v59, v67, v10
	;;#ASMEND
	s_wait_dscnt 0x2
	;;#ASMSTART
	v_dot2_f32_f16 v8, v56, v68, v8
	;;#ASMEND
	;;#ASMSTART
	v_dot2_f32_f16 v8, v57, v69, v8
	;;#ASMEND
	;;#ASMSTART
	v_dot2_f32_f16 v8, v58, v70, v8
	;;#ASMEND
	;;#ASMSTART
	v_dot2_f32_f16 v8, v59, v71, v8
	;;#ASMEND
	s_wait_dscnt 0x1
	;;#ASMSTART
	v_dot2_f32_f16 v77, v56, v72, v77
	;;#ASMEND
	;;#ASMSTART
	v_dot2_f32_f16 v77, v57, v73, v77
	;;#ASMEND
	;;#ASMSTART
	v_dot2_f32_f16 v77, v58, v74, v77
	;;#ASMEND
	;;#ASMSTART
	v_dot2_f32_f16 v77, v59, v75, v77
	;;#ASMEND
	s_wait_dscnt 0x0
	;;#ASMSTART
	v_dot2_f32_f16 v7, v80, v60, v7
	;;#ASMEND
	;;#ASMSTART
	v_dot2_f32_f16 v7, v81, v61, v7
	;;#ASMEND
	;;#ASMSTART
	v_dot2_f32_f16 v7, v82, v62, v7
	;;#ASMEND
	;;#ASMSTART
	v_dot2_f32_f16 v7, v83, v63, v7
	;;#ASMEND
	;;#ASMSTART
	v_dot2_f32_f16 v11, v80, v64, v11
	;;#ASMEND
	;;#ASMSTART
	v_dot2_f32_f16 v11, v81, v65, v11
	;;#ASMEND
	;; [unrolled: 3-line block ×12, first 2 shown]
	ds_load_b128 v[56:59], v50 offset:112
	ds_load_b128 v[60:63], v45 offset:240
	;; [unrolled: 1-line block ×6, first 2 shown]
	s_wait_dscnt 0x4
	;;#ASMSTART
	v_dot2_f32_f16 v6, v56, v60, v6
	;;#ASMEND
	;;#ASMSTART
	v_dot2_f32_f16 v6, v57, v61, v6
	;;#ASMEND
	;;#ASMSTART
	v_dot2_f32_f16 v6, v58, v62, v6
	;;#ASMEND
	;;#ASMSTART
	v_dot2_f32_f16 v6, v59, v63, v6
	;;#ASMEND
	s_wait_dscnt 0x3
	;;#ASMSTART
	v_dot2_f32_f16 v10, v56, v64, v10
	;;#ASMEND
	;;#ASMSTART
	v_dot2_f32_f16 v10, v57, v65, v10
	;;#ASMEND
	;;#ASMSTART
	v_dot2_f32_f16 v10, v58, v66, v10
	;;#ASMEND
	;;#ASMSTART
	v_dot2_f32_f16 v10, v59, v67, v10
	;;#ASMEND
	;; [unrolled: 13-line block ×5, first 2 shown]
	;;#ASMSTART
	v_dot2_f32_f16 v11, v80, v64, v11
	;;#ASMEND
	;;#ASMSTART
	v_dot2_f32_f16 v11, v81, v65, v11
	;;#ASMEND
	;; [unrolled: 3-line block ×12, first 2 shown]
	s_barrier_signal -1
	s_barrier_wait -1
	s_clause 0x1
	global_load_b128 v[56:59], v[0:1], off offset:256
	global_load_b128 v[60:63], v[2:3], off offset:256
	s_wait_loadcnt 0x1
	ds_store_b128 v48, v[56:59]
	s_wait_loadcnt 0x0
	ds_store_b128 v49, v[60:63]
	s_wait_dscnt 0x0
	s_barrier_signal -1
	s_barrier_wait -1
	ds_load_b128 v[0:3], v50
	ds_load_b128 v[56:59], v45 offset:256
	ds_load_b128 v[60:63], v45 offset:640
	;; [unrolled: 1-line block ×5, first 2 shown]
	s_wait_dscnt 0x4
	;;#ASMSTART
	v_dot2_f32_f16 v6, v0, v56, v6
	;;#ASMEND
	;;#ASMSTART
	v_dot2_f32_f16 v6, v1, v57, v6
	;;#ASMEND
	;;#ASMSTART
	v_dot2_f32_f16 v6, v2, v58, v6
	;;#ASMEND
	;;#ASMSTART
	v_dot2_f32_f16 v6, v3, v59, v6
	;;#ASMEND
	s_wait_dscnt 0x3
	;;#ASMSTART
	v_dot2_f32_f16 v10, v0, v60, v10
	;;#ASMEND
	;;#ASMSTART
	v_dot2_f32_f16 v10, v1, v61, v10
	;;#ASMEND
	;;#ASMSTART
	v_dot2_f32_f16 v10, v2, v62, v10
	;;#ASMEND
	;;#ASMSTART
	v_dot2_f32_f16 v10, v3, v63, v10
	;;#ASMEND
	s_wait_dscnt 0x2
	;;#ASMSTART
	v_dot2_f32_f16 v8, v0, v64, v8
	;;#ASMEND
	;;#ASMSTART
	v_dot2_f32_f16 v8, v1, v65, v8
	;;#ASMEND
	;;#ASMSTART
	v_dot2_f32_f16 v8, v2, v66, v8
	;;#ASMEND
	;;#ASMSTART
	v_dot2_f32_f16 v8, v3, v67, v8
	;;#ASMEND
	s_wait_dscnt 0x1
	;;#ASMSTART
	v_dot2_f32_f16 v77, v0, v68, v77
	;;#ASMEND
	;;#ASMSTART
	v_dot2_f32_f16 v77, v1, v69, v77
	;;#ASMEND
	;;#ASMSTART
	v_dot2_f32_f16 v77, v2, v70, v77
	;;#ASMEND
	;;#ASMSTART
	v_dot2_f32_f16 v77, v3, v71, v77
	;;#ASMEND
	s_wait_dscnt 0x0
	;;#ASMSTART
	v_dot2_f32_f16 v7, v72, v56, v7
	;;#ASMEND
	;;#ASMSTART
	v_dot2_f32_f16 v7, v73, v57, v7
	;;#ASMEND
	;;#ASMSTART
	v_dot2_f32_f16 v7, v74, v58, v7
	;;#ASMEND
	;;#ASMSTART
	v_dot2_f32_f16 v7, v75, v59, v7
	;;#ASMEND
	;;#ASMSTART
	v_dot2_f32_f16 v11, v72, v60, v11
	;;#ASMEND
	;;#ASMSTART
	v_dot2_f32_f16 v11, v73, v61, v11
	;;#ASMEND
	;; [unrolled: 3-line block ×12, first 2 shown]
	ds_load_b128 v[0:3], v50 offset:16
	ds_load_b128 v[56:59], v45 offset:272
	;; [unrolled: 1-line block ×6, first 2 shown]
	s_wait_dscnt 0x4
	;;#ASMSTART
	v_dot2_f32_f16 v6, v0, v56, v6
	;;#ASMEND
	;;#ASMSTART
	v_dot2_f32_f16 v6, v1, v57, v6
	;;#ASMEND
	;;#ASMSTART
	v_dot2_f32_f16 v6, v2, v58, v6
	;;#ASMEND
	;;#ASMSTART
	v_dot2_f32_f16 v6, v3, v59, v6
	;;#ASMEND
	s_wait_dscnt 0x3
	;;#ASMSTART
	v_dot2_f32_f16 v10, v0, v60, v10
	;;#ASMEND
	;;#ASMSTART
	v_dot2_f32_f16 v10, v1, v61, v10
	;;#ASMEND
	;;#ASMSTART
	v_dot2_f32_f16 v10, v2, v62, v10
	;;#ASMEND
	;;#ASMSTART
	v_dot2_f32_f16 v10, v3, v63, v10
	;;#ASMEND
	;; [unrolled: 13-line block ×5, first 2 shown]
	;;#ASMSTART
	v_dot2_f32_f16 v11, v72, v60, v11
	;;#ASMEND
	;;#ASMSTART
	v_dot2_f32_f16 v11, v73, v61, v11
	;;#ASMEND
	;; [unrolled: 3-line block ×12, first 2 shown]
	ds_load_b128 v[0:3], v50 offset:32
	ds_load_b128 v[56:59], v45 offset:288
	;; [unrolled: 1-line block ×6, first 2 shown]
	s_wait_dscnt 0x4
	;;#ASMSTART
	v_dot2_f32_f16 v6, v0, v56, v6
	;;#ASMEND
	;;#ASMSTART
	v_dot2_f32_f16 v6, v1, v57, v6
	;;#ASMEND
	;;#ASMSTART
	v_dot2_f32_f16 v6, v2, v58, v6
	;;#ASMEND
	;;#ASMSTART
	v_dot2_f32_f16 v6, v3, v59, v6
	;;#ASMEND
	s_wait_dscnt 0x3
	;;#ASMSTART
	v_dot2_f32_f16 v10, v0, v60, v10
	;;#ASMEND
	;;#ASMSTART
	v_dot2_f32_f16 v10, v1, v61, v10
	;;#ASMEND
	;;#ASMSTART
	v_dot2_f32_f16 v10, v2, v62, v10
	;;#ASMEND
	;;#ASMSTART
	v_dot2_f32_f16 v10, v3, v63, v10
	;;#ASMEND
	s_wait_dscnt 0x2
	;;#ASMSTART
	v_dot2_f32_f16 v8, v0, v64, v8
	;;#ASMEND
	;;#ASMSTART
	v_dot2_f32_f16 v8, v1, v65, v8
	;;#ASMEND
	;;#ASMSTART
	v_dot2_f32_f16 v8, v2, v66, v8
	;;#ASMEND
	;;#ASMSTART
	v_dot2_f32_f16 v8, v3, v67, v8
	;;#ASMEND
	s_wait_dscnt 0x1
	;;#ASMSTART
	v_dot2_f32_f16 v77, v0, v68, v77
	;;#ASMEND
	;;#ASMSTART
	v_dot2_f32_f16 v77, v1, v69, v77
	;;#ASMEND
	;;#ASMSTART
	v_dot2_f32_f16 v77, v2, v70, v77
	;;#ASMEND
	;;#ASMSTART
	v_dot2_f32_f16 v77, v3, v71, v77
	;;#ASMEND
	s_wait_dscnt 0x0
	;;#ASMSTART
	v_dot2_f32_f16 v7, v72, v56, v7
	;;#ASMEND
	;;#ASMSTART
	v_dot2_f32_f16 v7, v73, v57, v7
	;;#ASMEND
	;;#ASMSTART
	v_dot2_f32_f16 v7, v74, v58, v7
	;;#ASMEND
	;;#ASMSTART
	v_dot2_f32_f16 v7, v75, v59, v7
	;;#ASMEND
	;;#ASMSTART
	v_dot2_f32_f16 v11, v72, v60, v11
	;;#ASMEND
	;;#ASMSTART
	v_dot2_f32_f16 v11, v73, v61, v11
	;;#ASMEND
	;;#ASMSTART
	v_dot2_f32_f16 v11, v74, v62, v11
	;;#ASMEND
	;;#ASMSTART
	v_dot2_f32_f16 v11, v75, v63, v11
	;;#ASMEND
	;;#ASMSTART
	v_dot2_f32_f16 v9, v72, v64, v9
	;;#ASMEND
	;;#ASMSTART
	v_dot2_f32_f16 v9, v73, v65, v9
	;;#ASMEND
	;;#ASMSTART
	v_dot2_f32_f16 v9, v74, v66, v9
	;;#ASMEND
	;;#ASMSTART
	v_dot2_f32_f16 v9, v75, v67, v9
	;;#ASMEND
	;;#ASMSTART
	v_dot2_f32_f16 v78, v72, v68, v78
	;;#ASMEND
	;;#ASMSTART
	v_dot2_f32_f16 v78, v73, v69, v78
	;;#ASMEND
	;;#ASMSTART
	v_dot2_f32_f16 v78, v74, v70, v78
	;;#ASMEND
	;;#ASMSTART
	v_dot2_f32_f16 v78, v75, v71, v78
	;;#ASMEND
	ds_load_b128 v[0:3], v50 offset:48
	ds_load_b128 v[56:59], v45 offset:304
	;; [unrolled: 1-line block ×6, first 2 shown]
	s_wait_dscnt 0x4
	;;#ASMSTART
	v_dot2_f32_f16 v6, v0, v56, v6
	;;#ASMEND
	;;#ASMSTART
	v_dot2_f32_f16 v6, v1, v57, v6
	;;#ASMEND
	;;#ASMSTART
	v_dot2_f32_f16 v6, v2, v58, v6
	;;#ASMEND
	;;#ASMSTART
	v_dot2_f32_f16 v6, v3, v59, v6
	;;#ASMEND
	s_wait_dscnt 0x3
	;;#ASMSTART
	v_dot2_f32_f16 v10, v0, v60, v10
	;;#ASMEND
	;;#ASMSTART
	v_dot2_f32_f16 v10, v1, v61, v10
	;;#ASMEND
	;;#ASMSTART
	v_dot2_f32_f16 v10, v2, v62, v10
	;;#ASMEND
	;;#ASMSTART
	v_dot2_f32_f16 v10, v3, v63, v10
	;;#ASMEND
	;; [unrolled: 13-line block ×5, first 2 shown]
	;;#ASMSTART
	v_dot2_f32_f16 v11, v72, v60, v11
	;;#ASMEND
	;;#ASMSTART
	v_dot2_f32_f16 v11, v73, v61, v11
	;;#ASMEND
	;;#ASMSTART
	v_dot2_f32_f16 v11, v74, v62, v11
	;;#ASMEND
	;;#ASMSTART
	v_dot2_f32_f16 v11, v75, v63, v11
	;;#ASMEND
	;;#ASMSTART
	v_dot2_f32_f16 v9, v72, v64, v9
	;;#ASMEND
	;;#ASMSTART
	v_dot2_f32_f16 v9, v73, v65, v9
	;;#ASMEND
	;;#ASMSTART
	v_dot2_f32_f16 v9, v74, v66, v9
	;;#ASMEND
	;;#ASMSTART
	v_dot2_f32_f16 v9, v75, v67, v9
	;;#ASMEND
	;;#ASMSTART
	v_dot2_f32_f16 v78, v72, v68, v78
	;;#ASMEND
	;;#ASMSTART
	v_dot2_f32_f16 v78, v73, v69, v78
	;;#ASMEND
	;;#ASMSTART
	v_dot2_f32_f16 v78, v74, v70, v78
	;;#ASMEND
	;;#ASMSTART
	v_dot2_f32_f16 v78, v75, v71, v78
	;;#ASMEND
	ds_load_b128 v[0:3], v50 offset:64
	ds_load_b128 v[56:59], v45 offset:320
	;; [unrolled: 1-line block ×6, first 2 shown]
	s_wait_dscnt 0x4
	;;#ASMSTART
	v_dot2_f32_f16 v6, v0, v56, v6
	;;#ASMEND
	;;#ASMSTART
	v_dot2_f32_f16 v6, v1, v57, v6
	;;#ASMEND
	;;#ASMSTART
	v_dot2_f32_f16 v6, v2, v58, v6
	;;#ASMEND
	;;#ASMSTART
	v_dot2_f32_f16 v6, v3, v59, v6
	;;#ASMEND
	s_wait_dscnt 0x3
	;;#ASMSTART
	v_dot2_f32_f16 v10, v0, v60, v10
	;;#ASMEND
	;;#ASMSTART
	v_dot2_f32_f16 v10, v1, v61, v10
	;;#ASMEND
	;;#ASMSTART
	v_dot2_f32_f16 v10, v2, v62, v10
	;;#ASMEND
	;;#ASMSTART
	v_dot2_f32_f16 v10, v3, v63, v10
	;;#ASMEND
	;; [unrolled: 13-line block ×5, first 2 shown]
	;;#ASMSTART
	v_dot2_f32_f16 v11, v72, v60, v11
	;;#ASMEND
	;;#ASMSTART
	v_dot2_f32_f16 v11, v73, v61, v11
	;;#ASMEND
	;;#ASMSTART
	v_dot2_f32_f16 v11, v74, v62, v11
	;;#ASMEND
	;;#ASMSTART
	v_dot2_f32_f16 v11, v75, v63, v11
	;;#ASMEND
	;;#ASMSTART
	v_dot2_f32_f16 v9, v72, v64, v9
	;;#ASMEND
	;;#ASMSTART
	v_dot2_f32_f16 v9, v73, v65, v9
	;;#ASMEND
	;;#ASMSTART
	v_dot2_f32_f16 v9, v74, v66, v9
	;;#ASMEND
	;;#ASMSTART
	v_dot2_f32_f16 v9, v75, v67, v9
	;;#ASMEND
	;;#ASMSTART
	v_dot2_f32_f16 v78, v72, v68, v78
	;;#ASMEND
	;;#ASMSTART
	v_dot2_f32_f16 v78, v73, v69, v78
	;;#ASMEND
	;;#ASMSTART
	v_dot2_f32_f16 v78, v74, v70, v78
	;;#ASMEND
	;;#ASMSTART
	v_dot2_f32_f16 v78, v75, v71, v78
	;;#ASMEND
	ds_load_b128 v[0:3], v50 offset:80
	ds_load_b128 v[56:59], v45 offset:336
	;; [unrolled: 1-line block ×6, first 2 shown]
	s_wait_dscnt 0x4
	;;#ASMSTART
	v_dot2_f32_f16 v6, v0, v56, v6
	;;#ASMEND
	;;#ASMSTART
	v_dot2_f32_f16 v6, v1, v57, v6
	;;#ASMEND
	;;#ASMSTART
	v_dot2_f32_f16 v6, v2, v58, v6
	;;#ASMEND
	;;#ASMSTART
	v_dot2_f32_f16 v6, v3, v59, v6
	;;#ASMEND
	s_wait_dscnt 0x3
	;;#ASMSTART
	v_dot2_f32_f16 v10, v0, v60, v10
	;;#ASMEND
	;;#ASMSTART
	v_dot2_f32_f16 v10, v1, v61, v10
	;;#ASMEND
	;;#ASMSTART
	v_dot2_f32_f16 v10, v2, v62, v10
	;;#ASMEND
	;;#ASMSTART
	v_dot2_f32_f16 v10, v3, v63, v10
	;;#ASMEND
	;; [unrolled: 13-line block ×5, first 2 shown]
	;;#ASMSTART
	v_dot2_f32_f16 v11, v72, v60, v11
	;;#ASMEND
	;;#ASMSTART
	v_dot2_f32_f16 v11, v73, v61, v11
	;;#ASMEND
	;; [unrolled: 3-line block ×12, first 2 shown]
	ds_load_b128 v[0:3], v50 offset:96
	ds_load_b128 v[56:59], v45 offset:352
	;; [unrolled: 1-line block ×6, first 2 shown]
	s_wait_dscnt 0x4
	;;#ASMSTART
	v_dot2_f32_f16 v6, v0, v56, v6
	;;#ASMEND
	;;#ASMSTART
	v_dot2_f32_f16 v6, v1, v57, v6
	;;#ASMEND
	;;#ASMSTART
	v_dot2_f32_f16 v6, v2, v58, v6
	;;#ASMEND
	;;#ASMSTART
	v_dot2_f32_f16 v6, v3, v59, v6
	;;#ASMEND
	s_wait_dscnt 0x3
	;;#ASMSTART
	v_dot2_f32_f16 v10, v0, v60, v10
	;;#ASMEND
	;;#ASMSTART
	v_dot2_f32_f16 v10, v1, v61, v10
	;;#ASMEND
	;;#ASMSTART
	v_dot2_f32_f16 v10, v2, v62, v10
	;;#ASMEND
	;;#ASMSTART
	v_dot2_f32_f16 v10, v3, v63, v10
	;;#ASMEND
	s_wait_dscnt 0x2
	;;#ASMSTART
	v_dot2_f32_f16 v8, v0, v64, v8
	;;#ASMEND
	;;#ASMSTART
	v_dot2_f32_f16 v8, v1, v65, v8
	;;#ASMEND
	;;#ASMSTART
	v_dot2_f32_f16 v8, v2, v66, v8
	;;#ASMEND
	;;#ASMSTART
	v_dot2_f32_f16 v8, v3, v67, v8
	;;#ASMEND
	s_wait_dscnt 0x1
	;;#ASMSTART
	v_dot2_f32_f16 v77, v0, v68, v77
	;;#ASMEND
	;;#ASMSTART
	v_dot2_f32_f16 v77, v1, v69, v77
	;;#ASMEND
	;;#ASMSTART
	v_dot2_f32_f16 v77, v2, v70, v77
	;;#ASMEND
	;;#ASMSTART
	v_dot2_f32_f16 v77, v3, v71, v77
	;;#ASMEND
	s_wait_dscnt 0x0
	;;#ASMSTART
	v_dot2_f32_f16 v7, v72, v56, v7
	;;#ASMEND
	;;#ASMSTART
	v_dot2_f32_f16 v7, v73, v57, v7
	;;#ASMEND
	;;#ASMSTART
	v_dot2_f32_f16 v7, v74, v58, v7
	;;#ASMEND
	;;#ASMSTART
	v_dot2_f32_f16 v7, v75, v59, v7
	;;#ASMEND
	;;#ASMSTART
	v_dot2_f32_f16 v11, v72, v60, v11
	;;#ASMEND
	;;#ASMSTART
	v_dot2_f32_f16 v11, v73, v61, v11
	;;#ASMEND
	;; [unrolled: 3-line block ×12, first 2 shown]
	ds_load_b128 v[0:3], v50 offset:112
	ds_load_b128 v[56:59], v45 offset:368
	;; [unrolled: 1-line block ×6, first 2 shown]
	s_wait_dscnt 0x4
	;;#ASMSTART
	v_dot2_f32_f16 v6, v0, v56, v6
	;;#ASMEND
	;;#ASMSTART
	v_dot2_f32_f16 v6, v1, v57, v6
	;;#ASMEND
	;;#ASMSTART
	v_dot2_f32_f16 v6, v2, v58, v6
	;;#ASMEND
	;;#ASMSTART
	v_dot2_f32_f16 v6, v3, v59, v6
	;;#ASMEND
	s_wait_dscnt 0x3
	;;#ASMSTART
	v_dot2_f32_f16 v10, v0, v60, v10
	;;#ASMEND
	;;#ASMSTART
	v_dot2_f32_f16 v10, v1, v61, v10
	;;#ASMEND
	;;#ASMSTART
	v_dot2_f32_f16 v10, v2, v62, v10
	;;#ASMEND
	;;#ASMSTART
	v_dot2_f32_f16 v10, v3, v63, v10
	;;#ASMEND
	;; [unrolled: 13-line block ×5, first 2 shown]
	;;#ASMSTART
	v_dot2_f32_f16 v11, v72, v60, v11
	;;#ASMEND
	;;#ASMSTART
	v_dot2_f32_f16 v11, v73, v61, v11
	;;#ASMEND
	;; [unrolled: 3-line block ×5, first 2 shown]
	v_cmp_ngt_f32_e64 s24, 0x3f200000, |v6|
	;;#ASMSTART
	v_dot2_f32_f16 v9, v73, v65, v9
	;;#ASMEND
	;;#ASMSTART
	v_dot2_f32_f16 v9, v74, v66, v9
	;;#ASMEND
	;;#ASMSTART
	v_dot2_f32_f16 v9, v75, v67, v9
	;;#ASMEND
	;;#ASMSTART
	v_dot2_f32_f16 v78, v72, v68, v78
	;;#ASMEND
	;;#ASMSTART
	v_dot2_f32_f16 v78, v73, v69, v78
	;;#ASMEND
	;;#ASMSTART
	v_dot2_f32_f16 v78, v74, v70, v78
	;;#ASMEND
	;;#ASMSTART
	v_dot2_f32_f16 v78, v75, v71, v78
	;;#ASMEND
                                        ; implicit-def: $vgpr2
	s_and_saveexec_b32 s25, s24
	s_delay_alu instid0(SALU_CYCLE_1)
	s_xor_b32 s24, exec_lo, s25
	s_cbranch_execz .LBB21_19
; %bb.18:                               ;   in Loop: Header=BB21_17 Depth=1
	v_add_f32_e64 v0, |v6|, |v6|
	s_delay_alu instid0(VALU_DEP_1) | instskip(SKIP_1) | instid1(VALU_DEP_2)
	v_mul_f32_e32 v1, 0x3fb8aa3b, v0
	v_cmp_ngt_f32_e32 vcc_lo, 0xc2ce8ed0, v0
	v_rndne_f32_e32 v2, v1
	v_fma_f32 v3, 0x3fb8aa3b, v0, -v1
	s_delay_alu instid0(VALU_DEP_2) | instskip(NEXT) | instid1(VALU_DEP_2)
	v_sub_f32_e32 v1, v1, v2
	v_fmac_f32_e32 v3, 0x32a5705f, v0
	v_cvt_i32_f32_e32 v2, v2
	s_delay_alu instid0(VALU_DEP_2) | instskip(NEXT) | instid1(VALU_DEP_1)
	v_add_f32_e32 v1, v1, v3
	v_exp_f32_e32 v1, v1
	v_nop
	s_delay_alu instid0(TRANS32_DEP_1) | instskip(NEXT) | instid1(VALU_DEP_1)
	v_ldexp_f32 v1, v1, v2
	v_cndmask_b32_e32 v1, 0, v1, vcc_lo
	v_cmp_nlt_f32_e32 vcc_lo, 0x42b17218, v0
	s_delay_alu instid0(VALU_DEP_2) | instskip(NEXT) | instid1(VALU_DEP_1)
	v_cndmask_b32_e32 v0, 0x7f800000, v1, vcc_lo
	v_add_f32_e32 v0, 1.0, v0
	s_delay_alu instid0(VALU_DEP_1) | instskip(SKIP_1) | instid1(TRANS32_DEP_1)
	v_rcp_f32_e32 v0, v0
	v_nop
	v_fma_f32 v2, v0, -2.0, 1.0
.LBB21_19:                              ;   in Loop: Header=BB21_17 Depth=1
	s_and_not1_saveexec_b32 s24, s24
	s_cbranch_execz .LBB21_21
; %bb.20:                               ;   in Loop: Header=BB21_17 Depth=1
	v_mul_f32_e32 v0, v6, v6
	s_delay_alu instid0(VALU_DEP_1) | instskip(NEXT) | instid1(VALU_DEP_1)
	v_fmaak_f32 v1, s3, v0, 0x3ca908c9
	v_fmaak_f32 v1, v0, v1, 0xbd5c1c4e
	s_delay_alu instid0(VALU_DEP_1) | instskip(NEXT) | instid1(VALU_DEP_1)
	v_fmaak_f32 v1, v0, v1, 0x3e088382
	v_fmaak_f32 v1, v0, v1, 0xbeaaaa99
	s_delay_alu instid0(VALU_DEP_1) | instskip(NEXT) | instid1(VALU_DEP_1)
	v_mul_f32_e64 v1, |v6|, v1
	v_fma_f32 v2, v0, v1, |v6|
.LBB21_21:                              ;   in Loop: Header=BB21_17 Depth=1
	s_or_b32 exec_lo, exec_lo, s24
	v_add_nc_u32_e32 v0, s4, v51
	v_cmp_ngt_f32_e64 s24, 0x3f200000, |v7|
                                        ; implicit-def: $vgpr3
	global_load_u16 v4, v0, s[30:31] scale_offset
	s_wait_xcnt 0x0
	s_and_saveexec_b32 s25, s24
	s_delay_alu instid0(SALU_CYCLE_1)
	s_xor_b32 s24, exec_lo, s25
	s_cbranch_execz .LBB21_23
; %bb.22:                               ;   in Loop: Header=BB21_17 Depth=1
	v_add_f32_e64 v1, |v7|, |v7|
	s_delay_alu instid0(VALU_DEP_1) | instskip(SKIP_1) | instid1(VALU_DEP_2)
	v_mul_f32_e32 v3, 0x3fb8aa3b, v1
	v_cmp_ngt_f32_e32 vcc_lo, 0xc2ce8ed0, v1
	v_rndne_f32_e32 v5, v3
	v_fma_f32 v55, 0x3fb8aa3b, v1, -v3
	s_delay_alu instid0(VALU_DEP_2) | instskip(NEXT) | instid1(VALU_DEP_2)
	v_sub_f32_e32 v3, v3, v5
	v_fmac_f32_e32 v55, 0x32a5705f, v1
	v_cvt_i32_f32_e32 v5, v5
	s_delay_alu instid0(VALU_DEP_2) | instskip(NEXT) | instid1(VALU_DEP_1)
	v_add_f32_e32 v3, v3, v55
	v_exp_f32_e32 v3, v3
	v_nop
	s_delay_alu instid0(TRANS32_DEP_1) | instskip(NEXT) | instid1(VALU_DEP_1)
	v_ldexp_f32 v3, v3, v5
	v_cndmask_b32_e32 v3, 0, v3, vcc_lo
	v_cmp_nlt_f32_e32 vcc_lo, 0x42b17218, v1
	s_delay_alu instid0(VALU_DEP_2) | instskip(NEXT) | instid1(VALU_DEP_1)
	v_cndmask_b32_e32 v1, 0x7f800000, v3, vcc_lo
	v_add_f32_e32 v1, 1.0, v1
	s_delay_alu instid0(VALU_DEP_1) | instskip(SKIP_1) | instid1(TRANS32_DEP_1)
	v_rcp_f32_e32 v1, v1
	v_nop
	v_fma_f32 v3, v1, -2.0, 1.0
.LBB21_23:                              ;   in Loop: Header=BB21_17 Depth=1
	s_and_not1_saveexec_b32 s24, s24
	s_cbranch_execz .LBB21_25
; %bb.24:                               ;   in Loop: Header=BB21_17 Depth=1
	v_mul_f32_e32 v1, v7, v7
	s_delay_alu instid0(VALU_DEP_1) | instskip(NEXT) | instid1(VALU_DEP_1)
	v_fmaak_f32 v3, s3, v1, 0x3ca908c9
	v_fmaak_f32 v3, v1, v3, 0xbd5c1c4e
	s_delay_alu instid0(VALU_DEP_1) | instskip(NEXT) | instid1(VALU_DEP_1)
	v_fmaak_f32 v3, v1, v3, 0x3e088382
	v_fmaak_f32 v3, v1, v3, 0xbeaaaa99
	s_delay_alu instid0(VALU_DEP_1) | instskip(NEXT) | instid1(VALU_DEP_1)
	v_mul_f32_e64 v3, |v7|, v3
	v_fma_f32 v3, v1, v3, |v7|
.LBB21_25:                              ;   in Loop: Header=BB21_17 Depth=1
	s_or_b32 exec_lo, exec_lo, s24
	v_dual_ashrrev_i32 v1, 31, v0 :: v_dual_bitop2_b32 v59, 16, v46 bitop3:0x14
	v_xor_b32_e32 v57, 4, v46
	v_xor_b32_e32 v55, 1, v46
	;; [unrolled: 1-line block ×3, first 2 shown]
	s_delay_alu instid0(VALU_DEP_4)
	v_lshl_add_u64 v[0:1], v[0:1], 1, s[30:31]
	v_cmp_gt_i32_e32 vcc_lo, 32, v59
	v_cmp_ngt_f32_e64 s24, 0x3f200000, |v10|
	v_xor_b32_e32 v58, 8, v46
	global_load_u16 v5, v[0:1], off offset:64
	s_wait_xcnt 0x0
	v_bfi_b32 v0, 0x7fffffff, v2, v6
	v_bfi_b32 v1, 0x7fffffff, v3, v7
                                        ; implicit-def: $vgpr6
	s_wait_loadcnt 0x1
	s_delay_alu instid0(VALU_DEP_2) | instskip(SKIP_2) | instid1(VALU_DEP_2)
	v_fma_mix_f32 v67, s26, v0, v4 op_sel_hi:[0,0,1]
	v_cndmask_b32_e32 v0, v46, v59, vcc_lo
	v_cmp_gt_i32_e32 vcc_lo, 32, v58
	v_dual_cndmask_b32 v3, v46, v58 :: v_dual_lshlrev_b32 v0, 2, v0
	v_cmp_gt_i32_e32 vcc_lo, 32, v57
	s_delay_alu instid0(VALU_DEP_2) | instskip(SKIP_1) | instid1(VALU_DEP_2)
	v_dual_cndmask_b32 v3, v46, v57 :: v_dual_lshlrev_b32 v66, 2, v3
	v_cmp_gt_i32_e32 vcc_lo, 32, v56
	v_dual_lshlrev_b32 v63, 2, v3 :: v_dual_cndmask_b32 v3, v46, v56, vcc_lo
	v_cmp_gt_i32_e32 vcc_lo, 32, v55
	s_delay_alu instid0(VALU_DEP_2) | instskip(SKIP_1) | instid1(VALU_DEP_1)
	v_lshlrev_b32_e32 v62, 2, v3
	v_cndmask_b32_e32 v3, v46, v55, vcc_lo
	v_lshlrev_b32_e32 v3, 2, v3
	s_wait_loadcnt 0x0
	v_fma_mix_f32 v68, s26, v1, v5 op_sel_hi:[0,0,1]
	s_delay_alu instid0(VALU_DEP_1) | instskip(NEXT) | instid1(VALU_DEP_1)
	v_dual_add_f32 v1, 0x40051340, v67 :: v_dual_add_f32 v2, 0x40051340, v68
	v_max3_num_f32 v1, v21, v1, v2
	ds_bpermute_b32 v2, v0, v1
	s_wait_dscnt 0x0
	v_max_num_f32_e32 v2, v2, v2
	s_delay_alu instid0(VALU_DEP_1) | instskip(SKIP_3) | instid1(VALU_DEP_1)
	v_max_num_f32_e32 v1, v1, v2
	ds_bpermute_b32 v2, v66, v1
	s_wait_dscnt 0x0
	v_max_num_f32_e32 v2, v2, v2
	v_max_num_f32_e32 v1, v1, v2
	ds_bpermute_b32 v2, v63, v1
	s_wait_dscnt 0x0
	v_max_num_f32_e32 v2, v2, v2
	s_delay_alu instid0(VALU_DEP_1) | instskip(SKIP_3) | instid1(VALU_DEP_1)
	v_max_num_f32_e32 v1, v1, v2
	ds_bpermute_b32 v2, v62, v1
	s_wait_dscnt 0x0
	v_max_num_f32_e32 v2, v2, v2
	v_max_num_f32_e32 v1, v1, v2
	ds_bpermute_b32 v2, v3, v1
	s_and_saveexec_b32 s25, s24
	s_delay_alu instid0(SALU_CYCLE_1)
	s_xor_b32 s24, exec_lo, s25
	s_cbranch_execz .LBB21_27
; %bb.26:                               ;   in Loop: Header=BB21_17 Depth=1
	v_add_f32_e64 v6, |v10|, |v10|
	s_delay_alu instid0(VALU_DEP_1) | instskip(SKIP_1) | instid1(VALU_DEP_2)
	v_mul_f32_e32 v7, 0x3fb8aa3b, v6
	v_cmp_ngt_f32_e32 vcc_lo, 0xc2ce8ed0, v6
	v_rndne_f32_e32 v60, v7
	v_fma_f32 v61, 0x3fb8aa3b, v6, -v7
	s_delay_alu instid0(VALU_DEP_2) | instskip(NEXT) | instid1(VALU_DEP_2)
	v_sub_f32_e32 v7, v7, v60
	v_fmac_f32_e32 v61, 0x32a5705f, v6
	v_cvt_i32_f32_e32 v60, v60
	s_delay_alu instid0(VALU_DEP_2) | instskip(NEXT) | instid1(VALU_DEP_1)
	v_add_f32_e32 v7, v7, v61
	v_exp_f32_e32 v7, v7
	v_nop
	s_delay_alu instid0(TRANS32_DEP_1) | instskip(NEXT) | instid1(VALU_DEP_1)
	v_ldexp_f32 v7, v7, v60
	v_cndmask_b32_e32 v7, 0, v7, vcc_lo
	v_cmp_nlt_f32_e32 vcc_lo, 0x42b17218, v6
	s_delay_alu instid0(VALU_DEP_2) | instskip(NEXT) | instid1(VALU_DEP_1)
	v_cndmask_b32_e32 v6, 0x7f800000, v7, vcc_lo
	v_add_f32_e32 v6, 1.0, v6
	s_delay_alu instid0(VALU_DEP_1) | instskip(SKIP_1) | instid1(TRANS32_DEP_1)
	v_rcp_f32_e32 v6, v6
	v_nop
	v_fma_f32 v6, v6, -2.0, 1.0
.LBB21_27:                              ;   in Loop: Header=BB21_17 Depth=1
	s_and_not1_saveexec_b32 s24, s24
	s_cbranch_execz .LBB21_29
; %bb.28:                               ;   in Loop: Header=BB21_17 Depth=1
	v_mul_f32_e32 v6, v10, v10
	s_delay_alu instid0(VALU_DEP_1) | instskip(NEXT) | instid1(VALU_DEP_1)
	v_fmaak_f32 v7, s3, v6, 0x3ca908c9
	v_fmaak_f32 v7, v6, v7, 0xbd5c1c4e
	s_delay_alu instid0(VALU_DEP_1) | instskip(NEXT) | instid1(VALU_DEP_1)
	v_fmaak_f32 v7, v6, v7, 0x3e088382
	v_fmaak_f32 v7, v6, v7, 0xbeaaaa99
	s_delay_alu instid0(VALU_DEP_1) | instskip(NEXT) | instid1(VALU_DEP_1)
	v_mul_f32_e64 v7, |v10|, v7
	v_fma_f32 v6, v6, v7, |v10|
.LBB21_29:                              ;   in Loop: Header=BB21_17 Depth=1
	s_or_b32 exec_lo, exec_lo, s24
	v_cmp_ngt_f32_e64 s24, 0x3f200000, |v11|
                                        ; implicit-def: $vgpr7
	s_and_saveexec_b32 s25, s24
	s_delay_alu instid0(SALU_CYCLE_1)
	s_xor_b32 s24, exec_lo, s25
	s_cbranch_execz .LBB21_31
; %bb.30:                               ;   in Loop: Header=BB21_17 Depth=1
	v_add_f32_e64 v7, |v11|, |v11|
	s_delay_alu instid0(VALU_DEP_1) | instskip(SKIP_1) | instid1(VALU_DEP_2)
	v_mul_f32_e32 v60, 0x3fb8aa3b, v7
	v_cmp_ngt_f32_e32 vcc_lo, 0xc2ce8ed0, v7
	v_rndne_f32_e32 v61, v60
	v_fma_f32 v64, 0x3fb8aa3b, v7, -v60
	s_delay_alu instid0(VALU_DEP_2) | instskip(NEXT) | instid1(VALU_DEP_2)
	v_sub_f32_e32 v60, v60, v61
	v_fmac_f32_e32 v64, 0x32a5705f, v7
	v_cvt_i32_f32_e32 v61, v61
	s_delay_alu instid0(VALU_DEP_2) | instskip(NEXT) | instid1(VALU_DEP_1)
	v_add_f32_e32 v60, v60, v64
	v_exp_f32_e32 v60, v60
	v_nop
	s_delay_alu instid0(TRANS32_DEP_1) | instskip(NEXT) | instid1(VALU_DEP_1)
	v_ldexp_f32 v60, v60, v61
	v_cndmask_b32_e32 v60, 0, v60, vcc_lo
	v_cmp_nlt_f32_e32 vcc_lo, 0x42b17218, v7
	s_delay_alu instid0(VALU_DEP_2) | instskip(NEXT) | instid1(VALU_DEP_1)
	v_cndmask_b32_e32 v7, 0x7f800000, v60, vcc_lo
	v_add_f32_e32 v7, 1.0, v7
	s_delay_alu instid0(VALU_DEP_1) | instskip(SKIP_1) | instid1(TRANS32_DEP_1)
	v_rcp_f32_e32 v7, v7
	v_nop
	v_fma_f32 v7, v7, -2.0, 1.0
.LBB21_31:                              ;   in Loop: Header=BB21_17 Depth=1
	s_and_not1_saveexec_b32 s24, s24
	s_cbranch_execz .LBB21_33
; %bb.32:                               ;   in Loop: Header=BB21_17 Depth=1
	v_mul_f32_e32 v7, v11, v11
	s_delay_alu instid0(VALU_DEP_1) | instskip(NEXT) | instid1(VALU_DEP_1)
	v_fmaak_f32 v60, s3, v7, 0x3ca908c9
	v_fmaak_f32 v60, v7, v60, 0xbd5c1c4e
	s_delay_alu instid0(VALU_DEP_1) | instskip(NEXT) | instid1(VALU_DEP_1)
	v_fmaak_f32 v60, v7, v60, 0x3e088382
	v_fmaak_f32 v60, v7, v60, 0xbeaaaa99
	s_delay_alu instid0(VALU_DEP_1) | instskip(NEXT) | instid1(VALU_DEP_1)
	v_mul_f32_e64 v60, |v11|, v60
	v_fma_f32 v7, v7, v60, |v11|
.LBB21_33:                              ;   in Loop: Header=BB21_17 Depth=1
	s_or_b32 exec_lo, exec_lo, s24
	v_cvt_f32_f16_e32 v65, v4
	v_cvt_f32_f16_e32 v64, v5
	v_bfi_b32 v4, 0x7fffffff, v6, v10
	v_bfi_b32 v5, 0x7fffffff, v7, v11
	v_cmp_ngt_f32_e64 s24, 0x3f200000, |v8|
	s_delay_alu instid0(VALU_DEP_2) | instskip(NEXT) | instid1(VALU_DEP_1)
	v_dual_fma_f32 v69, s26, v4, v65 :: v_dual_fma_f32 v70, s26, v5, v64
	v_dual_add_f32 v4, 0x40051340, v69 :: v_dual_add_f32 v5, 0x40051340, v70
	s_delay_alu instid0(VALU_DEP_1) | instskip(SKIP_3) | instid1(VALU_DEP_1)
	v_max3_num_f32 v4, v23, v4, v5
	ds_bpermute_b32 v5, v0, v4
	s_wait_dscnt 0x0
	v_max_num_f32_e32 v5, v5, v5
	v_max_num_f32_e32 v4, v4, v5
	ds_bpermute_b32 v5, v66, v4
	s_wait_dscnt 0x0
	v_max_num_f32_e32 v5, v5, v5
	s_delay_alu instid0(VALU_DEP_1) | instskip(SKIP_3) | instid1(VALU_DEP_1)
	v_max_num_f32_e32 v4, v4, v5
	ds_bpermute_b32 v5, v63, v4
	s_wait_dscnt 0x0
	v_max_num_f32_e32 v5, v5, v5
	v_max_num_f32_e32 v4, v4, v5
	ds_bpermute_b32 v5, v62, v4
	s_wait_dscnt 0x0
	v_max_num_f32_e32 v5, v5, v5
	s_delay_alu instid0(VALU_DEP_1) | instskip(SKIP_2) | instid1(SALU_CYCLE_1)
	v_max_num_f32_e32 v60, v4, v5
                                        ; implicit-def: $vgpr4
	ds_bpermute_b32 v61, v3, v60
	s_and_saveexec_b32 s25, s24
	s_xor_b32 s24, exec_lo, s25
	s_cbranch_execz .LBB21_35
; %bb.34:                               ;   in Loop: Header=BB21_17 Depth=1
	v_add_f32_e64 v4, |v8|, |v8|
	s_delay_alu instid0(VALU_DEP_1) | instskip(SKIP_1) | instid1(VALU_DEP_2)
	v_mul_f32_e32 v5, 0x3fb8aa3b, v4
	v_cmp_ngt_f32_e32 vcc_lo, 0xc2ce8ed0, v4
	v_rndne_f32_e32 v6, v5
	v_fma_f32 v7, 0x3fb8aa3b, v4, -v5
	s_delay_alu instid0(VALU_DEP_2) | instskip(NEXT) | instid1(VALU_DEP_2)
	v_sub_f32_e32 v5, v5, v6
	v_fmac_f32_e32 v7, 0x32a5705f, v4
	v_cvt_i32_f32_e32 v6, v6
	s_delay_alu instid0(VALU_DEP_2) | instskip(NEXT) | instid1(VALU_DEP_1)
	v_add_f32_e32 v5, v5, v7
	v_exp_f32_e32 v5, v5
	v_nop
	s_delay_alu instid0(TRANS32_DEP_1) | instskip(NEXT) | instid1(VALU_DEP_1)
	v_ldexp_f32 v5, v5, v6
	v_cndmask_b32_e32 v5, 0, v5, vcc_lo
	v_cmp_nlt_f32_e32 vcc_lo, 0x42b17218, v4
	s_delay_alu instid0(VALU_DEP_2) | instskip(NEXT) | instid1(VALU_DEP_1)
	v_cndmask_b32_e32 v4, 0x7f800000, v5, vcc_lo
	v_add_f32_e32 v4, 1.0, v4
	s_delay_alu instid0(VALU_DEP_1) | instskip(SKIP_1) | instid1(TRANS32_DEP_1)
	v_rcp_f32_e32 v4, v4
	v_nop
	v_fma_f32 v4, v4, -2.0, 1.0
.LBB21_35:                              ;   in Loop: Header=BB21_17 Depth=1
	s_and_not1_saveexec_b32 s24, s24
	s_cbranch_execz .LBB21_37
; %bb.36:                               ;   in Loop: Header=BB21_17 Depth=1
	v_mul_f32_e32 v4, v8, v8
	s_delay_alu instid0(VALU_DEP_1) | instskip(NEXT) | instid1(VALU_DEP_1)
	v_fmaak_f32 v5, s3, v4, 0x3ca908c9
	v_fmaak_f32 v5, v4, v5, 0xbd5c1c4e
	s_delay_alu instid0(VALU_DEP_1) | instskip(NEXT) | instid1(VALU_DEP_1)
	v_fmaak_f32 v5, v4, v5, 0x3e088382
	v_fmaak_f32 v5, v4, v5, 0xbeaaaa99
	s_delay_alu instid0(VALU_DEP_1) | instskip(NEXT) | instid1(VALU_DEP_1)
	v_mul_f32_e64 v5, |v8|, v5
	v_fma_f32 v4, v4, v5, |v8|
.LBB21_37:                              ;   in Loop: Header=BB21_17 Depth=1
	s_or_b32 exec_lo, exec_lo, s24
	v_cmp_ngt_f32_e64 s24, 0x3f200000, |v9|
                                        ; implicit-def: $vgpr5
	s_and_saveexec_b32 s25, s24
	s_delay_alu instid0(SALU_CYCLE_1)
	s_xor_b32 s24, exec_lo, s25
	s_cbranch_execz .LBB21_39
; %bb.38:                               ;   in Loop: Header=BB21_17 Depth=1
	v_add_f32_e64 v5, |v9|, |v9|
	s_delay_alu instid0(VALU_DEP_1) | instskip(SKIP_1) | instid1(VALU_DEP_2)
	v_mul_f32_e32 v6, 0x3fb8aa3b, v5
	v_cmp_ngt_f32_e32 vcc_lo, 0xc2ce8ed0, v5
	v_rndne_f32_e32 v7, v6
	v_fma_f32 v10, 0x3fb8aa3b, v5, -v6
	s_delay_alu instid0(VALU_DEP_2) | instskip(NEXT) | instid1(VALU_DEP_2)
	v_sub_f32_e32 v6, v6, v7
	v_fmac_f32_e32 v10, 0x32a5705f, v5
	v_cvt_i32_f32_e32 v7, v7
	s_delay_alu instid0(VALU_DEP_2) | instskip(NEXT) | instid1(VALU_DEP_1)
	v_add_f32_e32 v6, v6, v10
	v_exp_f32_e32 v6, v6
	v_nop
	s_delay_alu instid0(TRANS32_DEP_1) | instskip(NEXT) | instid1(VALU_DEP_1)
	v_ldexp_f32 v6, v6, v7
	v_cndmask_b32_e32 v6, 0, v6, vcc_lo
	v_cmp_nlt_f32_e32 vcc_lo, 0x42b17218, v5
	s_delay_alu instid0(VALU_DEP_2) | instskip(NEXT) | instid1(VALU_DEP_1)
	v_cndmask_b32_e32 v5, 0x7f800000, v6, vcc_lo
	v_add_f32_e32 v5, 1.0, v5
	s_delay_alu instid0(VALU_DEP_1) | instskip(SKIP_1) | instid1(TRANS32_DEP_1)
	v_rcp_f32_e32 v5, v5
	v_nop
	v_fma_f32 v5, v5, -2.0, 1.0
.LBB21_39:                              ;   in Loop: Header=BB21_17 Depth=1
	s_and_not1_saveexec_b32 s24, s24
	s_cbranch_execz .LBB21_41
; %bb.40:                               ;   in Loop: Header=BB21_17 Depth=1
	v_mul_f32_e32 v5, v9, v9
	s_delay_alu instid0(VALU_DEP_1) | instskip(NEXT) | instid1(VALU_DEP_1)
	v_fmaak_f32 v6, s3, v5, 0x3ca908c9
	v_fmaak_f32 v6, v5, v6, 0xbd5c1c4e
	s_delay_alu instid0(VALU_DEP_1) | instskip(NEXT) | instid1(VALU_DEP_1)
	v_fmaak_f32 v6, v5, v6, 0x3e088382
	v_fmaak_f32 v6, v5, v6, 0xbeaaaa99
	s_delay_alu instid0(VALU_DEP_1) | instskip(NEXT) | instid1(VALU_DEP_1)
	v_mul_f32_e64 v6, |v9|, v6
	v_fma_f32 v5, v5, v6, |v9|
.LBB21_41:                              ;   in Loop: Header=BB21_17 Depth=1
	s_or_b32 exec_lo, exec_lo, s24
	v_bfi_b32 v4, 0x7fffffff, v4, v8
	s_delay_alu instid0(VALU_DEP_2) | instskip(SKIP_1) | instid1(VALU_DEP_2)
	v_bfi_b32 v5, 0x7fffffff, v5, v9
	v_cmp_ngt_f32_e64 s24, 0x3f200000, |v77|
                                        ; implicit-def: $vgpr75
	v_dual_fma_f32 v71, s26, v4, v65 :: v_dual_fma_f32 v72, s26, v5, v64
	s_delay_alu instid0(VALU_DEP_1) | instskip(NEXT) | instid1(VALU_DEP_1)
	v_dual_add_f32 v4, 0x40051340, v71 :: v_dual_add_f32 v5, 0x40051340, v72
	v_max3_num_f32 v4, v22, v4, v5
	ds_bpermute_b32 v5, v0, v4
	s_wait_dscnt 0x0
	v_max_num_f32_e32 v5, v5, v5
	s_delay_alu instid0(VALU_DEP_1) | instskip(SKIP_3) | instid1(VALU_DEP_1)
	v_max_num_f32_e32 v4, v4, v5
	ds_bpermute_b32 v5, v66, v4
	s_wait_dscnt 0x0
	v_max_num_f32_e32 v5, v5, v5
	v_max_num_f32_e32 v4, v4, v5
	ds_bpermute_b32 v5, v63, v4
	s_wait_dscnt 0x0
	v_max_num_f32_e32 v5, v5, v5
	s_delay_alu instid0(VALU_DEP_1) | instskip(SKIP_3) | instid1(VALU_DEP_1)
	v_max_num_f32_e32 v4, v4, v5
	ds_bpermute_b32 v5, v62, v4
	s_wait_dscnt 0x0
	v_max_num_f32_e32 v5, v5, v5
	v_max_num_f32_e32 v73, v4, v5
	ds_bpermute_b32 v74, v3, v73
	s_and_saveexec_b32 s25, s24
	s_delay_alu instid0(SALU_CYCLE_1)
	s_xor_b32 s24, exec_lo, s25
	s_cbranch_execz .LBB21_43
; %bb.42:                               ;   in Loop: Header=BB21_17 Depth=1
	v_add_f32_e64 v4, |v77|, |v77|
	s_delay_alu instid0(VALU_DEP_1) | instskip(SKIP_1) | instid1(VALU_DEP_2)
	v_mul_f32_e32 v5, 0x3fb8aa3b, v4
	v_cmp_ngt_f32_e32 vcc_lo, 0xc2ce8ed0, v4
	v_rndne_f32_e32 v6, v5
	v_fma_f32 v7, 0x3fb8aa3b, v4, -v5
	s_delay_alu instid0(VALU_DEP_2) | instskip(NEXT) | instid1(VALU_DEP_2)
	v_sub_f32_e32 v5, v5, v6
	v_fmac_f32_e32 v7, 0x32a5705f, v4
	v_cvt_i32_f32_e32 v6, v6
	s_delay_alu instid0(VALU_DEP_2) | instskip(NEXT) | instid1(VALU_DEP_1)
	v_add_f32_e32 v5, v5, v7
	v_exp_f32_e32 v5, v5
	v_nop
	s_delay_alu instid0(TRANS32_DEP_1) | instskip(NEXT) | instid1(VALU_DEP_1)
	v_ldexp_f32 v5, v5, v6
	v_cndmask_b32_e32 v5, 0, v5, vcc_lo
	v_cmp_nlt_f32_e32 vcc_lo, 0x42b17218, v4
	s_delay_alu instid0(VALU_DEP_2) | instskip(NEXT) | instid1(VALU_DEP_1)
	v_cndmask_b32_e32 v4, 0x7f800000, v5, vcc_lo
	v_add_f32_e32 v4, 1.0, v4
	s_delay_alu instid0(VALU_DEP_1) | instskip(SKIP_1) | instid1(TRANS32_DEP_1)
	v_rcp_f32_e32 v4, v4
	v_nop
	v_fma_f32 v75, v4, -2.0, 1.0
.LBB21_43:                              ;   in Loop: Header=BB21_17 Depth=1
	s_and_not1_saveexec_b32 s24, s24
	s_cbranch_execz .LBB21_45
; %bb.44:                               ;   in Loop: Header=BB21_17 Depth=1
	v_mul_f32_e32 v4, v77, v77
	s_delay_alu instid0(VALU_DEP_1) | instskip(NEXT) | instid1(VALU_DEP_1)
	v_fmaak_f32 v5, s3, v4, 0x3ca908c9
	v_fmaak_f32 v5, v4, v5, 0xbd5c1c4e
	s_delay_alu instid0(VALU_DEP_1) | instskip(NEXT) | instid1(VALU_DEP_1)
	v_fmaak_f32 v5, v4, v5, 0x3e088382
	v_fmaak_f32 v5, v4, v5, 0xbeaaaa99
	s_delay_alu instid0(VALU_DEP_1) | instskip(NEXT) | instid1(VALU_DEP_1)
	v_mul_f32_e64 v5, |v77|, v5
	v_fma_f32 v75, v4, v5, |v77|
.LBB21_45:                              ;   in Loop: Header=BB21_17 Depth=1
	s_or_b32 exec_lo, exec_lo, s24
	v_cmp_ngt_f32_e64 s24, 0x3f200000, |v78|
                                        ; implicit-def: $vgpr76
	s_and_saveexec_b32 s25, s24
	s_delay_alu instid0(SALU_CYCLE_1)
	s_xor_b32 s24, exec_lo, s25
	s_cbranch_execz .LBB21_47
; %bb.46:                               ;   in Loop: Header=BB21_17 Depth=1
	v_add_f32_e64 v4, |v78|, |v78|
	s_delay_alu instid0(VALU_DEP_1) | instskip(SKIP_1) | instid1(VALU_DEP_2)
	v_mul_f32_e32 v5, 0x3fb8aa3b, v4
	v_cmp_ngt_f32_e32 vcc_lo, 0xc2ce8ed0, v4
	v_rndne_f32_e32 v6, v5
	v_fma_f32 v7, 0x3fb8aa3b, v4, -v5
	s_delay_alu instid0(VALU_DEP_2) | instskip(NEXT) | instid1(VALU_DEP_2)
	v_sub_f32_e32 v5, v5, v6
	v_fmac_f32_e32 v7, 0x32a5705f, v4
	v_cvt_i32_f32_e32 v6, v6
	s_delay_alu instid0(VALU_DEP_2) | instskip(NEXT) | instid1(VALU_DEP_1)
	v_add_f32_e32 v5, v5, v7
	v_exp_f32_e32 v5, v5
	v_nop
	s_delay_alu instid0(TRANS32_DEP_1) | instskip(NEXT) | instid1(VALU_DEP_1)
	v_ldexp_f32 v5, v5, v6
	v_cndmask_b32_e32 v5, 0, v5, vcc_lo
	v_cmp_nlt_f32_e32 vcc_lo, 0x42b17218, v4
	s_delay_alu instid0(VALU_DEP_2) | instskip(NEXT) | instid1(VALU_DEP_1)
	v_cndmask_b32_e32 v4, 0x7f800000, v5, vcc_lo
	v_add_f32_e32 v4, 1.0, v4
	s_delay_alu instid0(VALU_DEP_1) | instskip(SKIP_1) | instid1(TRANS32_DEP_1)
	v_rcp_f32_e32 v4, v4
	v_nop
	v_fma_f32 v76, v4, -2.0, 1.0
.LBB21_47:                              ;   in Loop: Header=BB21_17 Depth=1
	s_and_not1_saveexec_b32 s24, s24
	s_cbranch_execz .LBB21_49
; %bb.48:                               ;   in Loop: Header=BB21_17 Depth=1
	v_mul_f32_e32 v4, v78, v78
	s_delay_alu instid0(VALU_DEP_1) | instskip(NEXT) | instid1(VALU_DEP_1)
	v_fmaak_f32 v5, s3, v4, 0x3ca908c9
	v_fmaak_f32 v5, v4, v5, 0xbd5c1c4e
	s_delay_alu instid0(VALU_DEP_1) | instskip(NEXT) | instid1(VALU_DEP_1)
	v_fmaak_f32 v5, v4, v5, 0x3e088382
	v_fmaak_f32 v5, v4, v5, 0xbeaaaa99
	s_delay_alu instid0(VALU_DEP_1) | instskip(NEXT) | instid1(VALU_DEP_1)
	v_mul_f32_e64 v5, |v78|, v5
	v_fma_f32 v76, v4, v5, |v78|
.LBB21_49:                              ;   in Loop: Header=BB21_17 Depth=1
	s_or_b32 exec_lo, exec_lo, s24
	s_mul_u64 s[24:25], s[4:5], s[10:11]
	s_wait_dscnt 0x0
	s_lshl_b64 s[24:25], s[24:25], 2
	s_barrier_signal -1
	s_add_nc_u64 s[24:25], s[8:9], s[24:25]
	s_barrier_wait -1
	v_add_nc_u64_e32 v[4:5], s[24:25], v[38:39]
	v_add_nc_u64_e32 v[6:7], s[24:25], v[40:41]
	v_bfi_b32 v75, 0x7fffffff, v75, v77
	v_bfi_b32 v76, 0x7fffffff, v76, v78
	v_dual_max_num_f32 v74, v74, v74 :: v_dual_max_num_f32 v1, v1, v1
	v_add_nc_u64_e32 v[80:81], v[4:5], v[32:33]
	v_add_nc_u64_e32 v[82:83], v[6:7], v[32:33]
	s_delay_alu instid0(VALU_DEP_4)
	v_dual_fmac_f32 v65, s26, v75 :: v_dual_fmac_f32 v64, s26, v76
	s_or_b32 s24, s4, 32
	s_clause 0x1
	global_load_b128 v[4:7], v[80:81], off
	global_load_b128 v[8:11], v[82:83], off
	v_dual_add_f32 v75, 0x40051340, v65 :: v_dual_add_f32 v76, 0x40051340, v64
	v_max_num_f32_e32 v77, v60, v60
	s_ashr_i32 s25, s24, 31
	s_delay_alu instid0(SALU_CYCLE_1) | instskip(NEXT) | instid1(VALU_DEP_2)
	s_mul_u64 s[24:25], s[24:25], s[10:11]
	v_max3_num_f32 v75, v20, v75, v76
	s_lshl_b64 s[24:25], s[24:25], 2
	s_delay_alu instid0(SALU_CYCLE_1) | instskip(SKIP_3) | instid1(VALU_DEP_2)
	s_add_nc_u64 s[24:25], s[8:9], s[24:25]
	ds_bpermute_b32 v76, v0, v75
	v_dual_max_num_f32 v0, v2, v2 :: v_dual_max_num_f32 v2, v73, v73
	v_dual_max_num_f32 v73, v61, v61 :: v_dual_add_nc_u32 v78, v52, v44
	v_dual_max_num_f32 v0, v1, v0 :: v_dual_max_num_f32 v2, v2, v74
	s_delay_alu instid0(VALU_DEP_2) | instskip(SKIP_2) | instid1(VALU_DEP_4)
	v_max_num_f32_e32 v1, v77, v73
	v_add_nc_u32_e32 v61, 0x3000, v44
	v_add_nc_u32_e32 v60, 0x3800, v44
	v_dual_sub_f32 v68, v68, v0 :: v_dual_sub_f32 v74, v22, v2
	s_delay_alu instid0(VALU_DEP_4) | instskip(SKIP_4) | instid1(VALU_DEP_3)
	v_dual_sub_f32 v73, v23, v1 :: v_dual_sub_f32 v23, v69, v1
	v_dual_sub_f32 v69, v70, v1 :: v_dual_sub_f32 v21, v21, v0
	v_sub_f32_e32 v67, v67, v0
	v_dual_sub_f32 v70, v71, v2 :: v_dual_sub_f32 v71, v72, v2
	s_wait_dscnt 0x0
	v_dual_max_num_f32 v22, v76, v76 :: v_dual_mul_f32 v79, 0x3fb8aa3b, v69
	s_delay_alu instid0(VALU_DEP_3) | instskip(SKIP_1) | instid1(VALU_DEP_3)
	v_mul_f32_e32 v72, 0x3fb8aa3b, v67
	v_dual_mul_f32 v76, 0x3fb8aa3b, v68 :: v_dual_mul_f32 v77, 0x3fb8aa3b, v23
	v_dual_max_num_f32 v22, v75, v22 :: v_dual_mul_f32 v75, 0x3fb8aa3b, v21
	s_delay_alu instid0(VALU_DEP_3) | instskip(SKIP_1) | instid1(VALU_DEP_4)
	v_rndne_f32_e32 v85, v72
	v_fma_f32 v84, 0x3fb8aa3b, v67, -v72
	v_rndne_f32_e32 v87, v76
	ds_bpermute_b32 v66, v66, v22
	s_wait_xcnt 0x1
	v_dual_mul_f32 v80, 0x3fb8aa3b, v73 :: v_dual_mul_f32 v81, 0x3fb8aa3b, v70
	v_fma_f32 v88, 0x3fb8aa3b, v21, -v75
	v_rndne_f32_e32 v89, v75
	s_wait_xcnt 0x0
	v_dual_mul_f32 v82, 0x3fb8aa3b, v71 :: v_dual_mul_f32 v83, 0x3fb8aa3b, v74
	v_fma_f32 v86, 0x3fb8aa3b, v68, -v76
	v_sub_f32_e32 v72, v72, v85
	v_fma_f32 v90, 0x3fb8aa3b, v23, -v77
	v_rndne_f32_e32 v91, v77
	v_fma_f32 v92, 0x3fb8aa3b, v69, -v79
	v_rndne_f32_e32 v93, v79
	;; [unrolled: 2-line block ×3, first 2 shown]
	v_rndne_f32_e32 v97, v81
	v_dual_fmac_f32 v84, 0x32a5705f, v67 :: v_dual_sub_f32 v75, v75, v89
	v_fma_f32 v96, 0x3fb8aa3b, v70, -v81
	v_fma_f32 v98, 0x3fb8aa3b, v71, -v82
	s_wait_dscnt 0x0
	v_max_num_f32_e32 v66, v66, v66
	v_dual_fmac_f32 v86, 0x32a5705f, v68 :: v_dual_sub_f32 v77, v77, v91
	v_dual_fmac_f32 v90, 0x32a5705f, v23 :: v_dual_sub_f32 v79, v79, v93
	s_delay_alu instid0(VALU_DEP_3)
	v_dual_max_num_f32 v22, v22, v66 :: v_dual_sub_f32 v66, v76, v87
	v_fmac_f32_e32 v94, 0x32a5705f, v73
	v_dual_sub_f32 v80, v80, v95 :: v_dual_sub_f32 v81, v81, v97
	ds_bpermute_b32 v63, v63, v22
	v_fmac_f32_e32 v88, 0x32a5705f, v21
	v_fmac_f32_e32 v92, 0x32a5705f, v69
	v_rndne_f32_e32 v99, v82
	v_fma_f32 v100, 0x3fb8aa3b, v74, -v83
	v_rndne_f32_e32 v101, v83
	v_cvt_i32_f32_e32 v76, v85
	v_cvt_i32_f32_e32 v85, v87
	;; [unrolled: 1-line block ×3, first 2 shown]
	v_dual_sub_f32 v82, v82, v99 :: v_dual_add_f32 v72, v72, v84
	v_dual_fmac_f32 v96, 0x32a5705f, v70 :: v_dual_sub_f32 v83, v83, v101
	v_add_f32_e32 v66, v66, v86
	v_cmp_ngt_f32_e32 vcc_lo, 0xc2ce8ed0, v67
	s_delay_alu instid0(VALU_DEP_4)
	v_exp_f32_e32 v72, v72
	v_cvt_i32_f32_e32 v89, v91
	v_cvt_i32_f32_e32 v91, v93
	;; [unrolled: 1-line block ×4, first 2 shown]
	s_wait_dscnt 0x0
	v_max_num_f32_e32 v63, v63, v63
	v_cvt_i32_f32_e32 v97, v99
	v_ldexp_f32 v72, v72, v76
	v_cvt_i32_f32_e32 v99, v101
	s_delay_alu instid0(VALU_DEP_4)
	v_dual_max_num_f32 v22, v22, v63 :: v_dual_add_f32 v63, v75, v88
	v_dual_fmac_f32 v98, 0x32a5705f, v71 :: v_dual_add_f32 v75, v77, v90
	v_dual_add_f32 v77, v79, v92 :: v_dual_add_f32 v79, v80, v94
	ds_bpermute_b32 v62, v62, v22
	v_exp_f32_e32 v63, v63
	v_add_f32_e32 v80, v81, v96
	v_exp_f32_e32 v66, v66
	v_exp_f32_e32 v75, v75
	;; [unrolled: 1-line block ×5, first 2 shown]
	v_ldexp_f32 v63, v63, v87
	v_fmac_f32_e32 v100, 0x32a5705f, v74
	v_add_f32_e32 v81, v82, v98
	v_ldexp_f32 v66, v66, v85
	v_cndmask_b32_e32 v72, 0, v72, vcc_lo
	v_cmp_ngt_f32_e32 vcc_lo, 0xc2ce8ed0, v68
	v_add_f32_e32 v82, v83, v100
	v_exp_f32_e32 v81, v81
	v_ldexp_f32 v75, v75, v89
	v_ldexp_f32 v76, v77, v91
	;; [unrolled: 1-line block ×3, first 2 shown]
	v_exp_f32_e32 v82, v82
	s_wait_dscnt 0x0
	v_max_num_f32_e32 v62, v62, v62
	v_ldexp_f32 v79, v80, v95
	v_ldexp_f32 v80, v81, v97
	s_delay_alu instid0(TRANS32_DEP_1) | instskip(NEXT) | instid1(VALU_DEP_4)
	v_ldexp_f32 v81, v82, v99
	v_max_num_f32_e32 v82, v22, v62
	v_cndmask_b32_e32 v62, 0, v66, vcc_lo
	v_cmp_ngt_f32_e32 vcc_lo, 0xc2ce8ed0, v21
	v_cndmask_b32_e32 v63, 0, v63, vcc_lo
	v_cmp_ngt_f32_e32 vcc_lo, 0xc2ce8ed0, v23
	;; [unrolled: 2-line block ×3, first 2 shown]
	ds_bpermute_b32 v3, v3, v82
	v_cndmask_b32_e32 v76, 0, v76, vcc_lo
	v_cmp_ngt_f32_e32 vcc_lo, 0xc2ce8ed0, v73
	v_cndmask_b32_e32 v77, 0, v77, vcc_lo
	v_cmp_ngt_f32_e32 vcc_lo, 0xc2ce8ed0, v70
	;; [unrolled: 2-line block ×3, first 2 shown]
	s_wait_dscnt 0x0
	v_dual_max_num_f32 v3, v3, v3 :: v_dual_cndmask_b32 v80, 0, v80
	v_cmp_ngt_f32_e32 vcc_lo, 0xc2ce8ed0, v74
	s_delay_alu instid0(VALU_DEP_2) | instskip(SKIP_1) | instid1(VALU_DEP_2)
	v_dual_max_num_f32 v3, v82, v3 :: v_dual_cndmask_b32 v81, 0, v81, vcc_lo
	v_cmp_nlt_f32_e32 vcc_lo, 0x42b17218, v67
	v_dual_sub_f32 v64, v64, v3 :: v_dual_sub_f32 v65, v65, v3
	v_cndmask_b32_e32 v22, 0x7f800000, v72, vcc_lo
	v_cmp_nlt_f32_e32 vcc_lo, 0x42b17218, v68
	v_cndmask_b32_e32 v62, 0x7f800000, v62, vcc_lo
	v_cmp_nlt_f32_e32 vcc_lo, 0x42b17218, v21
	v_mul_f32_e32 v21, 0x3fb8aa3b, v64
	v_cndmask_b32_e32 v66, 0x7f800000, v63, vcc_lo
	v_cmp_nlt_f32_e32 vcc_lo, 0x42b17218, v23
	v_cndmask_b32_e32 v23, 0x7f800000, v75, vcc_lo
	v_cmp_nlt_f32_e32 vcc_lo, 0x42b17218, v69
	;; [unrolled: 2-line block ×3, first 2 shown]
	v_dual_sub_f32 v73, v20, v3 :: v_dual_mul_f32 v20, 0x3fb8aa3b, v65
	v_cndmask_b32_e32 v67, 0x7f800000, v77, vcc_lo
	v_cmp_nlt_f32_e32 vcc_lo, 0x42b17218, v70
	s_delay_alu instid0(VALU_DEP_3) | instskip(NEXT) | instid1(VALU_DEP_4)
	v_mul_f32_e32 v75, 0x3fb8aa3b, v73
	v_fma_f32 v76, 0x3fb8aa3b, v65, -v20
	v_rndne_f32_e32 v77, v20
	s_delay_alu instid0(VALU_DEP_3)
	v_rndne_f32_e32 v82, v75
	v_cndmask_b32_e32 v68, 0x7f800000, v79, vcc_lo
	v_cmp_nlt_f32_e32 vcc_lo, 0x42b17218, v71
	v_fma_f32 v79, 0x3fb8aa3b, v64, -v21
	v_fmac_f32_e32 v76, 0x32a5705f, v65
	v_sub_f32_e32 v83, v20, v77
	v_cvt_f16_f32_e32 v69, v66
	v_cndmask_b32_e32 v70, 0x7f800000, v80, vcc_lo
	v_cmp_nlt_f32_e32 vcc_lo, 0x42b17218, v74
	v_rndne_f32_e32 v80, v21
	v_fmac_f32_e32 v79, 0x32a5705f, v64
	v_add_f32_e32 v76, v83, v76
	v_cvt_f16_f32_e32 v71, v67
	s_delay_alu instid0(VALU_DEP_4)
	v_sub_f32_e32 v84, v21, v80
	v_cndmask_b32_e32 v72, 0x7f800000, v81, vcc_lo
	v_fma_f32 v81, 0x3fb8aa3b, v73, -v75
	v_pk_add_f32 v[20:21], v[22:23], v[62:63]
	v_cvt_pk_f16_f32 v62, v62, v63
	v_exp_f32_e32 v63, v76
	v_sub_f32_e32 v75, v75, v82
	v_fmac_f32_e32 v81, 0x32a5705f, v73
	v_cvt_pk_f16_f32 v22, v22, v23
	v_add_f32_e32 v23, v84, v79
	v_cvt_i32_f32_e32 v76, v77
	v_cmp_ngt_f32_e32 vcc_lo, 0xc2ce8ed0, v65
	v_cvt_i32_f32_e32 v77, v80
	v_cvt_i32_f32_e32 v79, v82
	v_exp_f32_e32 v23, v23
	v_ldexp_f32 v63, v63, v76
	v_add_f32_e32 v75, v75, v81
	v_and_b32_e32 v80, 0xffff, v69
	v_and_b32_e32 v76, 0xffff, v71
	v_cvt_f16_f32_e32 v74, v72
	v_cndmask_b32_e32 v63, 0, v63, vcc_lo
	v_exp_f32_e32 v75, v75
	v_ldexp_f32 v23, v23, v77
	v_cmp_ngt_f32_e32 vcc_lo, 0xc2ce8ed0, v64
	v_mul_u32_u24_e32 v94, 0x10001, v80
	v_mul_u32_u24_e32 v95, 0x10001, v76
	s_delay_alu instid0(TRANS32_DEP_1)
	v_ldexp_f32 v69, v75, v79
	v_cndmask_b32_e32 v23, 0, v23, vcc_lo
	v_cmp_ngt_f32_e32 vcc_lo, 0xc2ce8ed0, v73
	v_pk_mul_f16 v97, v19, v94
	v_pk_mul_f16 v98, v18, v95
	v_cndmask_b32_e32 v75, 0, v69, vcc_lo
	v_cmp_nlt_f32_e32 vcc_lo, 0x42b17218, v65
	v_cndmask_b32_e32 v69, 0x7f800000, v63, vcc_lo
	v_cmp_nlt_f32_e32 vcc_lo, 0x42b17218, v64
	v_and_b32_e32 v64, 0xffff, v74
	v_cndmask_b32_e32 v71, 0x7f800000, v23, vcc_lo
	s_delay_alu instid0(VALU_DEP_4) | instskip(SKIP_1) | instid1(VALU_DEP_4)
	v_cvt_pk_f16_f32 v23, v68, v69
	v_cmp_nlt_f32_e32 vcc_lo, 0x42b17218, v73
	v_mul_u32_u24_e32 v96, 0x10001, v64
	s_delay_alu instid0(VALU_DEP_4) | instskip(SKIP_1) | instid1(VALU_DEP_3)
	v_cvt_pk_f16_f32 v63, v70, v71
	v_cndmask_b32_e32 v73, 0x7f800000, v75, vcc_lo
	v_pk_mul_f16 v99, v17, v96
	ds_store_2addr_b64 v78, v[22:23], v[62:63] offset1:32
	s_wait_loadcnt 0x1
	ds_store_b128 v53, v[4:7]
	s_wait_loadcnt 0x0
	ds_store_b128 v54, v[8:11]
	s_wait_dscnt 0x0
	s_barrier_signal -1
	s_barrier_wait -1
	ds_load_b128 v[4:7], v52
	v_pk_add_f32 v[8:9], v[68:69], v[70:71]
	s_delay_alu instid0(VALU_DEP_1)
	v_pk_fma_f32 v[26:27], v[26:27], v[72:73], v[8:9]
	ds_load_b128 v[8:11], v52 offset:16
	s_wait_dscnt 0x1
	v_lshrrev_b32_e32 v104, 16, v7
	v_pk_fma_f32 v[28:29], v[28:29], v[66:67], v[20:21]
	v_cvt_f16_f32_e32 v20, v73
	v_dual_lshrrev_b32 v101, 16, v4 :: v_dual_lshrrev_b32 v103, 16, v6
	v_lshrrev_b32_e32 v102, 16, v5
	v_and_b32_e32 v4, 0xffff, v4
	s_delay_alu instid0(VALU_DEP_4)
	v_and_b32_e32 v20, 0xffff, v20
	v_and_b32_e32 v5, 0xffff, v5
	v_mul_u32_u24_e32 v101, 0x10001, v101
	v_and_b32_e32 v6, 0xffff, v6
	v_mul_u32_u24_e32 v4, 0x10001, v4
	v_mul_u32_u24_e32 v20, 0x10001, v20
	;; [unrolled: 1-line block ×3, first 2 shown]
	v_and_b32_e32 v7, 0xffff, v7
	s_wait_dscnt 0x0
	v_dual_lshrrev_b32 v105, 16, v8 :: v_dual_lshrrev_b32 v107, 16, v10
	v_pk_mul_f16 v15, v15, v20
	v_pk_mul_f16 v100, v16, v20
	ds_load_2addr_b64 v[16:19], v61 offset1:32
	ds_load_b128 v[20:23], v52 offset:32
	ds_load_b128 v[62:65], v52 offset:48
	ds_load_2addr_b64 v[66:69], v61 offset0:64 offset1:96
	ds_load_b128 v[70:73], v52 offset:64
	ds_load_b128 v[74:77], v52 offset:80
	ds_load_2addr_b64 v[78:81], v61 offset0:128 offset1:160
	ds_load_2addr_b64 v[82:85], v61 offset0:192 offset1:224
	ds_load_2addr_b64 v[86:89], v60 offset1:32
	ds_load_2addr_b64 v[90:93], v60 offset0:64 offset1:96
	v_lshrrev_b32_e32 v106, 16, v9
	v_and_b32_e32 v8, 0xffff, v8
	v_and_b32_e32 v9, 0xffff, v9
	v_mul_u32_u24_e32 v102, 0x10001, v102
	v_mul_u32_u24_e32 v6, 0x10001, v6
	;; [unrolled: 1-line block ×3, first 2 shown]
	v_lshrrev_b32_e32 v108, 16, v11
	v_and_b32_e32 v10, 0xffff, v10
	v_and_b32_e32 v11, 0xffff, v11
	v_mul_u32_u24_e32 v104, 0x10001, v104
	s_wait_dscnt 0x9
	v_pk_mul_f16 v122, v16, v4
	v_pk_fma_f16 v4, v17, v4, v97
	v_pk_mul_f16 v97, v16, v101
	v_pk_fma_f16 v98, v17, v101, v98
	;; [unrolled: 2-line block ×3, first 2 shown]
	v_pk_fma_f16 v14, v14, v94, v122
	v_mul_u32_u24_e32 v103, 0x10001, v103
	v_mul_u32_u24_e32 v8, 0x10001, v8
	v_pk_fma_f16 v12, v12, v96, v101
	v_mul_u32_u24_e32 v9, 0x10001, v9
	v_pk_fma_f16 v15, v16, v102, v15
	v_pk_fma_f16 v13, v13, v95, v97
	;; [unrolled: 1-line block ×6, first 2 shown]
	s_wait_dscnt 0x8
	v_dual_lshrrev_b32 v109, 16, v20 :: v_dual_lshrrev_b32 v111, 16, v22
	v_lshrrev_b32_e32 v110, 16, v21
	v_and_b32_e32 v20, 0xffff, v20
	v_and_b32_e32 v21, 0xffff, v21
	v_mul_u32_u24_e32 v106, 0x10001, v106
	v_mul_u32_u24_e32 v105, 0x10001, v105
	;; [unrolled: 1-line block ×4, first 2 shown]
	v_pk_fma_f16 v16, v17, v102, v100
	v_pk_fma_f16 v15, v18, v104, v15
	;; [unrolled: 1-line block ×4, first 2 shown]
	s_wait_dscnt 0x6
	v_pk_fma_f16 v4, v67, v8, v4
	v_pk_fma_f16 v5, v67, v9, v5
	;; [unrolled: 1-line block ×4, first 2 shown]
	v_dual_lshrrev_b32 v112, 16, v23 :: v_dual_lshrrev_b32 v113, 16, v62
	v_and_b32_e32 v22, 0xffff, v22
	v_and_b32_e32 v23, 0xffff, v23
	v_mul_u32_u24_e32 v108, 0x10001, v108
	v_mul_u32_u24_e32 v107, 0x10001, v107
	;; [unrolled: 1-line block ×4, first 2 shown]
	v_pk_fma_f16 v12, v66, v106, v15
	v_pk_fma_f16 v14, v67, v105, v17
	v_pk_fma_f16 v8, v66, v105, v13
	v_pk_fma_f16 v4, v69, v10, v4
	v_pk_fma_f16 v5, v69, v11, v5
	v_pk_fma_f16 v6, v68, v10, v6
	v_pk_fma_f16 v7, v68, v11, v7
	v_dual_lshrrev_b32 v114, 16, v63 :: v_dual_lshrrev_b32 v115, 16, v64
	v_and_b32_e32 v62, 0xffff, v62
	v_and_b32_e32 v63, 0xffff, v63
	v_mul_u32_u24_e32 v109, 0x10001, v109
	v_mul_u32_u24_e32 v110, 0x10001, v110
	v_mul_u32_u24_e32 v22, 0x10001, v22
	v_mul_u32_u24_e32 v23, 0x10001, v23
	v_pk_fma_f16 v16, v19, v104, v16
	v_pk_fma_f16 v9, v68, v108, v12
	;; [unrolled: 1-line block ×4, first 2 shown]
	s_wait_dscnt 0x3
	v_pk_fma_f16 v4, v79, v20, v4
	v_pk_fma_f16 v5, v79, v21, v5
	;; [unrolled: 1-line block ×4, first 2 shown]
	v_lshrrev_b32_e32 v116, 16, v65
	v_and_b32_e32 v64, 0xffff, v64
	v_and_b32_e32 v65, 0xffff, v65
	v_mul_u32_u24_e32 v111, 0x10001, v111
	v_mul_u32_u24_e32 v112, 0x10001, v112
	;; [unrolled: 1-line block ×4, first 2 shown]
	v_pk_fma_f16 v15, v67, v106, v16
	v_pk_fma_f16 v9, v78, v110, v9
	;; [unrolled: 1-line block ×8, first 2 shown]
	v_dual_lshrrev_b32 v117, 16, v70 :: v_dual_lshrrev_b32 v118, 16, v71
	v_and_b32_e32 v70, 0xffff, v70
	v_and_b32_e32 v71, 0xffff, v71
	v_mul_u32_u24_e32 v113, 0x10001, v113
	v_mul_u32_u24_e32 v114, 0x10001, v114
	;; [unrolled: 1-line block ×4, first 2 shown]
	v_pk_fma_f16 v12, v69, v108, v15
	v_pk_fma_f16 v9, v80, v112, v9
	;; [unrolled: 1-line block ×4, first 2 shown]
	s_wait_dscnt 0x2
	v_pk_fma_f16 v4, v83, v62, v4
	v_pk_fma_f16 v5, v83, v63, v5
	;; [unrolled: 1-line block ×4, first 2 shown]
	v_dual_lshrrev_b32 v119, 16, v72 :: v_dual_lshrrev_b32 v120, 16, v73
	v_and_b32_e32 v72, 0xffff, v72
	v_and_b32_e32 v73, 0xffff, v73
	v_mul_u32_u24_e32 v115, 0x10001, v115
	v_mul_u32_u24_e32 v116, 0x10001, v116
	;; [unrolled: 1-line block ×4, first 2 shown]
	v_pk_fma_f16 v11, v79, v110, v12
	v_pk_fma_f16 v9, v82, v114, v9
	v_pk_fma_f16 v10, v83, v113, v10
	v_pk_fma_f16 v8, v82, v113, v8
	v_pk_fma_f16 v4, v85, v64, v4
	v_pk_fma_f16 v5, v85, v65, v5
	v_pk_fma_f16 v6, v84, v64, v6
	v_pk_fma_f16 v7, v84, v65, v7
	v_and_b32_e32 v121, 0xffff, v74
	v_mul_u32_u24_e32 v117, 0x10001, v117
	v_mul_u32_u24_e32 v118, 0x10001, v118
	;; [unrolled: 1-line block ×4, first 2 shown]
	v_pk_fma_f16 v11, v81, v112, v11
	v_pk_fma_f16 v9, v84, v116, v9
	;; [unrolled: 1-line block ×4, first 2 shown]
	s_wait_dscnt 0x1
	v_pk_fma_f16 v4, v87, v70, v4
	v_pk_fma_f16 v5, v87, v71, v5
	;; [unrolled: 1-line block ×4, first 2 shown]
	v_and_b32_e32 v13, 0xffff, v75
	v_mul_u32_u24_e32 v119, 0x10001, v119
	v_mul_u32_u24_e32 v120, 0x10001, v120
	v_pk_fma_f16 v11, v83, v114, v11
	v_pk_fma_f16 v9, v86, v118, v9
	;; [unrolled: 1-line block ×7, first 2 shown]
	v_dual_lshrrev_b32 v12, 16, v74 :: v_dual_lshrrev_b32 v14, 16, v75
	v_pk_fma_f16 v15, v89, v73, v5
	v_mul_u32_u24_e32 v5, 0x10001, v121
	v_mul_u32_u24_e32 v13, 0x10001, v13
	v_pk_fma_f16 v11, v85, v116, v11
	v_pk_fma_f16 v9, v88, v120, v9
	;; [unrolled: 1-line block ×4, first 2 shown]
	v_mul_u32_u24_e32 v12, 0x10001, v12
	v_mul_u32_u24_e32 v14, 0x10001, v14
	s_wait_dscnt 0x0
	v_pk_fma_f16 v17, v90, v5, v6
	v_pk_fma_f16 v19, v90, v13, v7
	;; [unrolled: 1-line block ×3, first 2 shown]
	ds_load_b128 v[4:7], v52 offset:96
	v_pk_fma_f16 v11, v87, v118, v11
	v_pk_fma_f16 v18, v90, v12, v8
	;; [unrolled: 1-line block ×4, first 2 shown]
	v_and_b32_e32 v8, 0xffff, v76
	v_lshrrev_b32_e32 v9, 16, v76
	v_and_b32_e32 v10, 0xffff, v77
	v_pk_fma_f16 v16, v89, v120, v11
	v_pk_fma_f16 v22, v91, v13, v15
	v_lshrrev_b32_e32 v13, 16, v77
	v_mul_u32_u24_e32 v15, 0x10001, v8
	v_mul_u32_u24_e32 v23, 0x10001, v9
	;; [unrolled: 1-line block ×3, first 2 shown]
	ds_load_2addr_b64 v[8:11], v60 offset0:128 offset1:160
	v_mul_u32_u24_e32 v63, 0x10001, v13
	v_pk_fma_f16 v16, v91, v14, v16
	v_pk_fma_f16 v17, v92, v15, v17
	;; [unrolled: 1-line block ×5, first 2 shown]
	ds_load_b128 v[12:15], v52 offset:112
	s_wait_dscnt 0x2
	v_and_b32_e32 v64, 0xffff, v4
	v_lshrrev_b32_e32 v4, 16, v4
	v_and_b32_e32 v65, 0xffff, v5
	v_lshrrev_b32_e32 v5, 16, v5
	v_pk_fma_f16 v19, v92, v62, v19
	v_pk_fma_f16 v20, v92, v63, v20
	;; [unrolled: 1-line block ×3, first 2 shown]
	v_mul_u32_u24_e32 v62, 0x10001, v64
	v_mul_u32_u24_e32 v4, 0x10001, v4
	;; [unrolled: 1-line block ×4, first 2 shown]
	v_lshrrev_b32_e32 v5, 16, v6
	s_wait_dscnt 0x1
	v_pk_fma_f16 v17, v8, v62, v17
	v_pk_fma_f16 v18, v8, v4, v18
	;; [unrolled: 1-line block ×6, first 2 shown]
	v_and_b32_e32 v4, 0xffff, v6
	v_pk_fma_f16 v16, v93, v63, v16
	v_pk_fma_f16 v22, v9, v64, v22
	v_and_b32_e32 v23, 0xffff, v7
	v_lshrrev_b32_e32 v62, 16, v7
	v_mul_u32_u24_e32 v63, 0x10001, v4
	v_mul_u32_u24_e32 v64, 0x10001, v5
	ds_load_2addr_b64 v[4:7], v60 offset0:192 offset1:224
	v_mul_u32_u24_e32 v23, 0x10001, v23
	v_mul_u32_u24_e32 v62, 0x10001, v62
	v_pk_fma_f16 v9, v9, v65, v16
	v_pk_fma_f16 v16, v10, v63, v17
	;; [unrolled: 1-line block ×7, first 2 shown]
	s_wait_dscnt 0x1
	v_and_b32_e32 v20, 0xffff, v12
	v_lshrrev_b32_e32 v12, 16, v12
	v_and_b32_e32 v21, 0xffff, v13
	v_lshrrev_b32_e32 v13, 16, v13
	v_add_nc_u64_e32 v[102:103], s[24:25], v[38:39]
	v_add_nc_u64_e32 v[104:105], s[24:25], v[40:41]
	v_pk_fma_f16 v22, v11, v23, v22
	v_mul_u32_u24_e32 v20, 0x10001, v20
	v_mul_u32_u24_e32 v13, 0x10001, v13
	;; [unrolled: 1-line block ×4, first 2 shown]
	v_pk_fma_f16 v23, v11, v62, v9
	v_dual_lshrrev_b32 v9, 16, v14 :: v_dual_lshrrev_b32 v126, 16, v15
	s_wait_dscnt 0x0
	v_pk_fma_f16 v123, v4, v13, v8
	v_and_b32_e32 v8, 0xffff, v14
	v_add_nc_u64_e32 v[118:119], v[102:103], v[32:33]
	v_add_nc_u64_e32 v[120:121], v[104:105], v[32:33]
	v_pk_fma_f16 v16, v4, v20, v16
	v_pk_fma_f16 v17, v4, v12, v17
	;; [unrolled: 1-line block ×6, first 2 shown]
	v_add_nc_u32_e32 v4, 0x4000, v44
	v_mul_u32_u24_e32 v14, 0x10001, v8
	v_mul_u32_u24_e32 v19, 0x10001, v9
	v_pk_fma_f16 v127, v5, v13, v23
	v_add_nc_u32_e32 v5, 0x4800, v44
	v_and_b32_e32 v125, 0xffff, v15
	ds_load_2addr_b64 v[8:11], v4 offset1:32
	v_pk_fma_f16 v128, v6, v14, v16
	v_pk_fma_f16 v129, v6, v19, v17
	;; [unrolled: 1-line block ×4, first 2 shown]
	ds_load_b128 v[12:15], v52 offset:128
	ds_load_b128 v[16:19], v52 offset:144
	ds_load_2addr_b64 v[20:23], v4 offset0:64 offset1:96
	ds_load_2addr_b64 v[62:65], v4 offset0:128 offset1:160
	ds_load_b128 v[66:69], v52 offset:160
	ds_load_b128 v[70:73], v52 offset:176
	ds_load_2addr_b64 v[74:77], v4 offset0:192 offset1:224
	ds_load_2addr_b64 v[78:81], v5 offset1:32
	ds_load_2addr_b64 v[82:85], v5 offset0:64 offset1:96
	ds_load_b128 v[86:89], v52 offset:192
	ds_load_b128 v[90:93], v52 offset:208
	ds_load_2addr_b64 v[94:97], v5 offset0:128 offset1:160
	ds_load_2addr_b64 v[98:101], v5 offset0:192 offset1:224
	ds_load_b128 v[102:105], v52 offset:224
	ds_load_b128 v[106:109], v52 offset:240
	s_wait_dscnt 0x0
	s_barrier_signal -1
	s_barrier_wait -1
	s_clause 0x1
	global_load_b128 v[110:113], v[118:119], off
	global_load_b128 v[114:117], v[120:121], off
	s_wait_xcnt 0x1
	v_mul_u32_u24_e32 v118, 0x10001, v125
	v_mul_u32_u24_e32 v119, 0x10001, v126
	s_wait_loadcnt 0x1
	ds_store_b128 v53, v[110:113]
	s_wait_loadcnt 0x0
	ds_store_b128 v54, v[114:117]
	v_pk_fma_f16 v120, v6, v118, v122
	v_pk_fma_f16 v6, v6, v119, v123
	v_pk_fma_f16 v118, v7, v118, v124
	v_and_b32_e32 v121, 0xffff, v12
	v_pk_fma_f16 v7, v7, v119, v127
	v_lshrrev_b32_e32 v12, 16, v12
	v_and_b32_e32 v119, 0xffff, v13
	v_lshrrev_b32_e32 v13, 16, v13
	v_mul_u32_u24_e32 v121, 0x10001, v121
	v_and_b32_e32 v124, 0xffff, v15
	v_mul_u32_u24_e32 v12, 0x10001, v12
	v_mul_u32_u24_e32 v119, 0x10001, v119
	;; [unrolled: 1-line block ×3, first 2 shown]
	v_pk_fma_f16 v122, v8, v121, v128
	v_lshrrev_b32_e32 v15, 16, v15
	v_pk_fma_f16 v123, v8, v12, v129
	v_pk_fma_f16 v120, v8, v119, v120
	;; [unrolled: 1-line block ×4, first 2 shown]
	v_and_b32_e32 v121, 0xffff, v14
	v_lshrrev_b32_e32 v14, 16, v14
	v_pk_fma_f16 v12, v9, v12, v131
	v_pk_fma_f16 v118, v9, v119, v118
	v_mul_u32_u24_e32 v15, 0x10001, v15
	v_mul_u32_u24_e32 v119, 0x10001, v121
	;; [unrolled: 1-line block ×4, first 2 shown]
	v_pk_fma_f16 v7, v9, v13, v7
	v_pk_fma_f16 v6, v10, v15, v6
	;; [unrolled: 1-line block ×6, first 2 shown]
	v_and_b32_e32 v12, 0xffff, v16
	v_pk_fma_f16 v8, v11, v119, v8
	v_lshrrev_b32_e32 v14, 16, v16
	v_and_b32_e32 v16, 0xffff, v17
	v_lshrrev_b32_e32 v17, 16, v17
	v_mul_u32_u24_e32 v12, 0x10001, v12
	v_pk_fma_f16 v118, v11, v121, v118
	v_mul_u32_u24_e32 v14, 0x10001, v14
	v_mul_u32_u24_e32 v16, 0x10001, v16
	;; [unrolled: 1-line block ×3, first 2 shown]
	v_pk_fma_f16 v9, v20, v12, v9
	v_pk_fma_f16 v8, v21, v12, v8
	v_and_b32_e32 v12, 0xffff, v18
	v_pk_fma_f16 v7, v11, v15, v7
	v_pk_fma_f16 v11, v20, v14, v13
	;; [unrolled: 1-line block ×3, first 2 shown]
	v_dual_lshrrev_b32 v14, 16, v18 :: v_dual_lshrrev_b32 v18, 16, v19
	v_and_b32_e32 v15, 0xffff, v19
	v_mul_u32_u24_e32 v12, 0x10001, v12
	v_pk_fma_f16 v13, v20, v16, v120
	v_pk_fma_f16 v6, v20, v17, v6
	;; [unrolled: 1-line block ×3, first 2 shown]
	v_mul_u32_u24_e32 v14, 0x10001, v14
	v_mul_u32_u24_e32 v15, 0x10001, v15
	v_pk_fma_f16 v7, v21, v17, v7
	v_pk_fma_f16 v9, v22, v12, v9
	;; [unrolled: 1-line block ×3, first 2 shown]
	v_and_b32_e32 v12, 0xffff, v66
	v_and_b32_e32 v17, 0xffff, v67
	v_pk_fma_f16 v11, v22, v14, v11
	v_pk_fma_f16 v13, v22, v15, v13
	;; [unrolled: 1-line block ×3, first 2 shown]
	v_dual_lshrrev_b32 v14, 16, v66 :: v_dual_lshrrev_b32 v19, 16, v67
	v_pk_fma_f16 v15, v23, v15, v16
	v_mul_u32_u24_e32 v12, 0x10001, v12
	v_mul_u32_u24_e32 v16, 0x10001, v17
	s_delay_alu instid0(VALU_DEP_4)
	v_mul_u32_u24_e32 v14, 0x10001, v14
	v_mul_u32_u24_e32 v18, 0x10001, v18
	v_mul_u32_u24_e32 v17, 0x10001, v19
	v_pk_fma_f16 v9, v62, v12, v9
	v_pk_fma_f16 v13, v62, v16, v13
	;; [unrolled: 1-line block ×3, first 2 shown]
	v_and_b32_e32 v12, 0xffff, v68
	v_pk_fma_f16 v15, v63, v16, v15
	v_and_b32_e32 v16, 0xffff, v69
	v_pk_fma_f16 v11, v62, v14, v11
	v_pk_fma_f16 v10, v63, v14, v10
	v_lshrrev_b32_e32 v14, 16, v68
	v_mul_u32_u24_e32 v12, 0x10001, v12
	v_mul_u32_u24_e32 v16, 0x10001, v16
	v_pk_fma_f16 v6, v22, v18, v6
	v_pk_fma_f16 v7, v23, v18, v7
	v_lshrrev_b32_e32 v18, 16, v69
	v_mul_u32_u24_e32 v14, 0x10001, v14
	v_pk_fma_f16 v9, v64, v12, v9
	v_pk_fma_f16 v8, v65, v12, v8
	;; [unrolled: 1-line block ×3, first 2 shown]
	v_and_b32_e32 v13, 0xffff, v70
	v_pk_fma_f16 v6, v62, v17, v6
	v_pk_fma_f16 v7, v63, v17, v7
	v_mul_u32_u24_e32 v17, 0x10001, v18
	v_pk_fma_f16 v11, v64, v14, v11
	v_pk_fma_f16 v10, v65, v14, v10
	v_dual_lshrrev_b32 v14, 16, v70 :: v_dual_lshrrev_b32 v19, 16, v71
	v_and_b32_e32 v18, 0xffff, v71
	v_mul_u32_u24_e32 v13, 0x10001, v13
	v_pk_fma_f16 v6, v64, v17, v6
	v_pk_fma_f16 v15, v65, v16, v15
	v_mul_u32_u24_e32 v14, 0x10001, v14
	v_mul_u32_u24_e32 v16, 0x10001, v18
	v_pk_fma_f16 v7, v65, v17, v7
	v_pk_fma_f16 v9, v74, v13, v9
	v_and_b32_e32 v17, 0xffff, v72
	v_pk_fma_f16 v8, v75, v13, v8
	v_lshrrev_b32_e32 v13, 16, v72
	v_pk_fma_f16 v11, v74, v14, v11
	v_pk_fma_f16 v10, v75, v14, v10
	;; [unrolled: 1-line block ×3, first 2 shown]
	v_mul_u32_u24_e32 v15, 0x10001, v17
	v_lshrrev_b32_e32 v17, 16, v73
	v_mul_u32_u24_e32 v13, 0x10001, v13
	v_mul_u32_u24_e32 v18, 0x10001, v19
	v_pk_fma_f16 v12, v74, v16, v12
	v_pk_fma_f16 v9, v76, v15, v9
	;; [unrolled: 1-line block ×5, first 2 shown]
	v_and_b32_e32 v13, 0xffff, v86
	v_dual_lshrrev_b32 v15, 16, v86 :: v_dual_lshrrev_b32 v19, 16, v87
	v_and_b32_e32 v16, 0xffff, v73
	v_pk_fma_f16 v6, v74, v18, v6
	s_delay_alu instid0(VALU_DEP_4) | instskip(NEXT) | instid1(VALU_DEP_4)
	v_mul_u32_u24_e32 v13, 0x10001, v13
	v_mul_u32_u24_e32 v15, 0x10001, v15
	v_pk_fma_f16 v7, v75, v18, v7
	v_mul_u32_u24_e32 v16, 0x10001, v16
	v_and_b32_e32 v18, 0xffff, v87
	v_pk_fma_f16 v9, v78, v13, v9
	v_pk_fma_f16 v11, v78, v15, v11
	v_pk_fma_f16 v8, v79, v13, v8
	v_pk_fma_f16 v10, v79, v15, v10
	v_and_b32_e32 v13, 0xffff, v88
	v_lshrrev_b32_e32 v15, 16, v88
	v_mul_u32_u24_e32 v17, 0x10001, v17
	v_pk_fma_f16 v12, v76, v16, v12
	v_pk_fma_f16 v14, v77, v16, v14
	v_mul_u32_u24_e32 v16, 0x10001, v18
	v_mul_u32_u24_e32 v18, 0x10001, v19
	v_lshrrev_b32_e32 v19, 16, v89
	v_mul_u32_u24_e32 v13, 0x10001, v13
	v_mul_u32_u24_e32 v15, 0x10001, v15
	v_pk_fma_f16 v6, v76, v17, v6
	v_pk_fma_f16 v7, v77, v17, v7
	v_and_b32_e32 v17, 0xffff, v89
	v_pk_fma_f16 v9, v80, v13, v9
	v_pk_fma_f16 v11, v80, v15, v11
	v_pk_fma_f16 v8, v81, v13, v8
	v_pk_fma_f16 v10, v81, v15, v10
	v_and_b32_e32 v13, 0xffff, v90
	v_lshrrev_b32_e32 v15, 16, v90
	v_pk_fma_f16 v12, v78, v16, v12
	v_pk_fma_f16 v14, v79, v16, v14
	v_mul_u32_u24_e32 v16, 0x10001, v17
	v_mul_u32_u24_e32 v17, 0x10001, v19
	v_lshrrev_b32_e32 v19, 16, v91
	v_mul_u32_u24_e32 v13, 0x10001, v13
	v_mul_u32_u24_e32 v15, 0x10001, v15
	v_pk_fma_f16 v6, v78, v18, v6
	v_pk_fma_f16 v7, v79, v18, v7
	v_and_b32_e32 v18, 0xffff, v91
	v_pk_fma_f16 v9, v82, v13, v9
	v_pk_fma_f16 v11, v82, v15, v11
	v_pk_fma_f16 v8, v83, v13, v8
	v_pk_fma_f16 v10, v83, v15, v10
	v_and_b32_e32 v13, 0xffff, v92
	v_lshrrev_b32_e32 v15, 16, v92
	;; [unrolled: 16-line block ×4, first 2 shown]
	v_pk_fma_f16 v12, v84, v16, v12
	v_pk_fma_f16 v6, v84, v17, v6
	v_pk_fma_f16 v14, v85, v16, v14
	v_mul_u32_u24_e32 v16, 0x10001, v18
	v_mul_u32_u24_e32 v18, 0x10001, v19
	v_pk_fma_f16 v7, v85, v17, v7
	v_and_b32_e32 v17, 0xffff, v105
	v_lshrrev_b32_e32 v19, 16, v105
	v_mul_u32_u24_e32 v13, 0x10001, v13
	v_mul_u32_u24_e32 v15, 0x10001, v15
	v_pk_fma_f16 v12, v94, v16, v12
	v_pk_fma_f16 v6, v94, v18, v6
	v_pk_fma_f16 v14, v95, v16, v14
	v_mul_u32_u24_e32 v16, 0x10001, v17
	v_mul_u32_u24_e32 v17, 0x10001, v19
	v_pk_fma_f16 v7, v95, v18, v7
	v_pk_fma_f16 v9, v96, v13, v9
	;; [unrolled: 1-line block ×5, first 2 shown]
	v_and_b32_e32 v13, 0xffff, v106
	v_dual_lshrrev_b32 v15, 16, v106 :: v_dual_lshrrev_b32 v19, 16, v107
	v_and_b32_e32 v18, 0xffff, v107
	v_pk_fma_f16 v12, v96, v16, v12
	v_pk_fma_f16 v6, v96, v17, v6
	;; [unrolled: 1-line block ×3, first 2 shown]
	v_mul_u32_u24_e32 v13, 0x10001, v13
	v_mul_u32_u24_e32 v16, 0x10001, v18
	;; [unrolled: 1-line block ×4, first 2 shown]
	v_pk_fma_f16 v17, v97, v17, v7
	v_pk_fma_f16 v19, v98, v13, v9
	;; [unrolled: 1-line block ×4, first 2 shown]
	s_wait_dscnt 0x0
	s_barrier_signal -1
	s_barrier_wait -1
	ds_load_b128 v[6:9], v52 offset:256
	v_pk_fma_f16 v20, v98, v15, v11
	v_pk_fma_f16 v21, v98, v16, v12
	;; [unrolled: 1-line block ×3, first 2 shown]
	v_and_b32_e32 v10, 0xffff, v108
	v_dual_lshrrev_b32 v11, 16, v108 :: v_dual_lshrrev_b32 v13, 16, v109
	v_and_b32_e32 v12, 0xffff, v109
	v_pk_fma_f16 v14, v99, v16, v14
	v_pk_fma_f16 v18, v99, v18, v17
	v_mul_u32_u24_e32 v16, 0x10001, v10
	v_mul_u32_u24_e32 v17, 0x10001, v11
	;; [unrolled: 1-line block ×4, first 2 shown]
	ds_load_2addr_b64 v[10:13], v61 offset1:32
	v_pk_fma_f16 v66, v100, v16, v19
	v_pk_fma_f16 v67, v100, v17, v20
	v_pk_fma_f16 v23, v101, v16, v23
	v_pk_fma_f16 v69, v101, v17, v15
	v_pk_fma_f16 v70, v101, v62, v14
	ds_load_b128 v[14:17], v52 offset:272
	s_wait_dscnt 0x2
	v_and_b32_e32 v19, 0xffff, v6
	v_lshrrev_b32_e32 v6, 16, v6
	v_and_b32_e32 v20, 0xffff, v7
	v_lshrrev_b32_e32 v7, 16, v7
	v_pk_fma_f16 v68, v100, v62, v21
	v_pk_fma_f16 v22, v100, v63, v22
	v_mul_u32_u24_e32 v72, 0x10001, v19
	v_mul_u32_u24_e32 v6, 0x10001, v6
	;; [unrolled: 1-line block ×4, first 2 shown]
	v_lshrrev_b32_e32 v7, 16, v8
	v_pk_fma_f16 v71, v101, v63, v18
	ds_load_b128 v[18:21], v52 offset:288
	ds_load_b128 v[62:65], v52 offset:304
	s_wait_dscnt 0x3
	v_pk_fma_f16 v66, v10, v72, v66
	v_pk_fma_f16 v67, v10, v6, v67
	v_pk_fma_f16 v68, v10, v73, v68
	v_pk_fma_f16 v10, v10, v74, v22
	v_pk_fma_f16 v22, v11, v72, v23
	v_pk_fma_f16 v23, v11, v6, v69
	v_and_b32_e32 v6, 0xffff, v8
	v_pk_fma_f16 v69, v11, v73, v70
	v_and_b32_e32 v70, 0xffff, v9
	v_lshrrev_b32_e32 v72, 16, v9
	v_mul_u32_u24_e32 v75, 0x10001, v7
	v_mul_u32_u24_e32 v73, 0x10001, v6
	ds_load_2addr_b64 v[6:9], v61 offset0:64 offset1:96
	v_mul_u32_u24_e32 v70, 0x10001, v70
	v_mul_u32_u24_e32 v72, 0x10001, v72
	v_pk_fma_f16 v11, v11, v74, v71
	v_pk_fma_f16 v66, v12, v73, v66
	;; [unrolled: 1-line block ×7, first 2 shown]
	s_wait_dscnt 0x3
	v_and_b32_e32 v23, 0xffff, v14
	v_lshrrev_b32_e32 v14, 16, v14
	v_and_b32_e32 v71, 0xffff, v15
	v_lshrrev_b32_e32 v15, 16, v15
	v_pk_fma_f16 v69, v13, v70, v69
	v_mul_u32_u24_e32 v23, 0x10001, v23
	v_mul_u32_u24_e32 v14, 0x10001, v14
	;; [unrolled: 1-line block ×4, first 2 shown]
	v_pk_fma_f16 v71, v13, v72, v11
	s_wait_dscnt 0x0
	v_pk_fma_f16 v66, v6, v23, v66
	v_pk_fma_f16 v67, v6, v14, v67
	;; [unrolled: 1-line block ×4, first 2 shown]
	v_and_b32_e32 v10, 0xffff, v16
	v_lshrrev_b32_e32 v11, 16, v16
	v_pk_fma_f16 v23, v7, v23, v12
	v_pk_fma_f16 v14, v7, v14, v22
	;; [unrolled: 1-line block ×3, first 2 shown]
	v_and_b32_e32 v22, 0xffff, v17
	v_lshrrev_b32_e32 v17, 16, v17
	v_mul_u32_u24_e32 v69, 0x10001, v10
	v_mul_u32_u24_e32 v70, 0x10001, v11
	ds_load_2addr_b64 v[10:13], v61 offset0:128 offset1:160
	v_mul_u32_u24_e32 v22, 0x10001, v22
	v_mul_u32_u24_e32 v17, 0x10001, v17
	v_pk_fma_f16 v7, v7, v15, v71
	v_pk_fma_f16 v15, v8, v69, v66
	;; [unrolled: 1-line block ×6, first 2 shown]
	v_and_b32_e32 v23, 0xffff, v18
	v_lshrrev_b32_e32 v18, 16, v18
	v_and_b32_e32 v68, 0xffff, v19
	v_lshrrev_b32_e32 v19, 16, v19
	v_pk_fma_f16 v16, v9, v22, v16
	v_mul_u32_u24_e32 v22, 0x10001, v23
	v_mul_u32_u24_e32 v18, 0x10001, v18
	;; [unrolled: 1-line block ×4, first 2 shown]
	v_pk_fma_f16 v14, v9, v70, v14
	v_pk_fma_f16 v17, v9, v17, v7
	s_wait_dscnt 0x0
	v_pk_fma_f16 v15, v10, v22, v15
	v_pk_fma_f16 v66, v10, v18, v66
	;; [unrolled: 1-line block ×4, first 2 shown]
	v_and_b32_e32 v6, 0xffff, v20
	v_dual_lshrrev_b32 v7, 16, v20 :: v_dual_lshrrev_b32 v20, 16, v21
	v_pk_fma_f16 v22, v11, v22, v8
	v_pk_fma_f16 v14, v11, v18, v14
	v_pk_fma_f16 v16, v11, v23, v16
	v_and_b32_e32 v18, 0xffff, v21
	v_mul_u32_u24_e32 v21, 0x10001, v6
	v_mul_u32_u24_e32 v23, 0x10001, v7
	ds_load_2addr_b64 v[6:9], v61 offset0:192 offset1:224
	v_mul_u32_u24_e32 v20, 0x10001, v20
	v_mul_u32_u24_e32 v18, 0x10001, v18
	v_pk_fma_f16 v11, v11, v19, v17
	v_pk_fma_f16 v15, v12, v21, v15
	;; [unrolled: 1-line block ×7, first 2 shown]
	v_and_b32_e32 v21, 0xffff, v62
	v_dual_lshrrev_b32 v22, 16, v62 :: v_dual_lshrrev_b32 v61, 16, v63
	v_and_b32_e32 v23, 0xffff, v63
	v_pk_fma_f16 v16, v13, v18, v16
	s_delay_alu instid0(VALU_DEP_4) | instskip(NEXT) | instid1(VALU_DEP_4)
	v_mul_u32_u24_e32 v18, 0x10001, v21
	v_mul_u32_u24_e32 v21, 0x10001, v22
	v_pk_fma_f16 v20, v13, v20, v11
	v_mul_u32_u24_e32 v22, 0x10001, v23
	v_mul_u32_u24_e32 v23, 0x10001, v61
	s_wait_dscnt 0x0
	v_pk_fma_f16 v61, v6, v18, v15
	v_pk_fma_f16 v62, v6, v21, v17
	v_pk_fma_f16 v18, v7, v18, v12
	v_pk_fma_f16 v19, v6, v22, v19
	v_pk_fma_f16 v6, v6, v23, v10
	ds_load_b128 v[10:13], v52 offset:320
	v_pk_fma_f16 v21, v7, v21, v14
	v_and_b32_e32 v14, 0xffff, v64
	v_dual_lshrrev_b32 v15, 16, v64 :: v_dual_lshrrev_b32 v63, 16, v65
	v_and_b32_e32 v17, 0xffff, v65
	v_pk_fma_f16 v22, v7, v22, v16
	s_delay_alu instid0(VALU_DEP_4) | instskip(NEXT) | instid1(VALU_DEP_4)
	v_mul_u32_u24_e32 v64, 0x10001, v14
	v_mul_u32_u24_e32 v65, 0x10001, v15
	v_mul_u32_u24_e32 v63, 0x10001, v63
	v_mul_u32_u24_e32 v66, 0x10001, v17
	ds_load_2addr_b64 v[14:17], v60 offset1:32
	v_pk_fma_f16 v7, v7, v23, v20
	v_pk_fma_f16 v23, v8, v64, v61
	;; [unrolled: 1-line block ×7, first 2 shown]
	ds_load_b128 v[18:21], v52 offset:336
	s_wait_dscnt 0x2
	v_and_b32_e32 v65, 0xffff, v10
	v_lshrrev_b32_e32 v10, 16, v10
	v_and_b32_e32 v67, 0xffff, v11
	v_lshrrev_b32_e32 v11, 16, v11
	v_pk_fma_f16 v22, v9, v66, v22
	v_mul_u32_u24_e32 v65, 0x10001, v65
	v_mul_u32_u24_e32 v10, 0x10001, v10
	;; [unrolled: 1-line block ×4, first 2 shown]
	v_pk_fma_f16 v63, v9, v63, v7
	v_lshrrev_b32_e32 v7, 16, v12
	s_wait_dscnt 0x1
	v_pk_fma_f16 v23, v14, v65, v23
	v_pk_fma_f16 v61, v14, v10, v61
	;; [unrolled: 1-line block ×4, first 2 shown]
	v_and_b32_e32 v6, 0xffff, v12
	v_pk_fma_f16 v65, v15, v65, v8
	v_pk_fma_f16 v10, v15, v10, v64
	;; [unrolled: 1-line block ×3, first 2 shown]
	v_and_b32_e32 v22, 0xffff, v13
	v_lshrrev_b32_e32 v13, 16, v13
	v_mul_u32_u24_e32 v64, 0x10001, v6
	v_mul_u32_u24_e32 v66, 0x10001, v7
	ds_load_2addr_b64 v[6:9], v60 offset0:64 offset1:96
	v_mul_u32_u24_e32 v22, 0x10001, v22
	v_mul_u32_u24_e32 v13, 0x10001, v13
	v_pk_fma_f16 v11, v15, v11, v63
	v_pk_fma_f16 v15, v16, v64, v23
	;; [unrolled: 1-line block ×5, first 2 shown]
	s_wait_dscnt 0x1
	v_and_b32_e32 v10, 0xffff, v18
	v_pk_fma_f16 v14, v16, v13, v14
	v_pk_fma_f16 v16, v17, v64, v65
	v_lshrrev_b32_e32 v18, 16, v18
	v_and_b32_e32 v63, 0xffff, v19
	v_lshrrev_b32_e32 v19, 16, v19
	v_mul_u32_u24_e32 v10, 0x10001, v10
	v_pk_fma_f16 v22, v17, v22, v12
	v_mul_u32_u24_e32 v18, 0x10001, v18
	v_mul_u32_u24_e32 v63, 0x10001, v63
	;; [unrolled: 1-line block ×3, first 2 shown]
	v_pk_fma_f16 v64, v17, v13, v11
	s_wait_dscnt 0x0
	v_pk_fma_f16 v65, v6, v10, v15
	v_pk_fma_f16 v66, v7, v10, v16
	ds_load_b128 v[10:13], v52 offset:352
	v_pk_fma_f16 v23, v6, v18, v23
	v_pk_fma_f16 v61, v6, v63, v61
	;; [unrolled: 1-line block ×3, first 2 shown]
	v_and_b32_e32 v14, 0xffff, v20
	v_dual_lshrrev_b32 v15, 16, v20 :: v_dual_lshrrev_b32 v20, 16, v21
	v_and_b32_e32 v16, 0xffff, v21
	v_pk_fma_f16 v18, v7, v18, v62
	v_pk_fma_f16 v22, v7, v63, v22
	v_mul_u32_u24_e32 v21, 0x10001, v14
	v_mul_u32_u24_e32 v62, 0x10001, v15
	;; [unrolled: 1-line block ×3, first 2 shown]
	ds_load_2addr_b64 v[14:17], v60 offset0:128 offset1:160
	v_mul_u32_u24_e32 v67, 0x10001, v20
	v_pk_fma_f16 v7, v7, v19, v64
	v_pk_fma_f16 v64, v8, v21, v65
	v_pk_fma_f16 v23, v8, v62, v23
	v_pk_fma_f16 v61, v8, v63, v61
	v_pk_fma_f16 v6, v8, v67, v6
	v_pk_fma_f16 v8, v9, v21, v66
	v_pk_fma_f16 v62, v9, v62, v18
	ds_load_b128 v[18:21], v52 offset:368
	s_wait_dscnt 0x2
	v_and_b32_e32 v65, 0xffff, v10
	v_lshrrev_b32_e32 v10, 16, v10
	v_and_b32_e32 v66, 0xffff, v11
	v_lshrrev_b32_e32 v11, 16, v11
	v_pk_fma_f16 v22, v9, v63, v22
	v_mul_u32_u24_e32 v63, 0x10001, v65
	v_mul_u32_u24_e32 v10, 0x10001, v10
	;; [unrolled: 1-line block ×4, first 2 shown]
	v_pk_fma_f16 v66, v9, v67, v7
	s_wait_dscnt 0x1
	v_pk_fma_f16 v64, v14, v63, v64
	v_pk_fma_f16 v23, v14, v10, v23
	;; [unrolled: 1-line block ×4, first 2 shown]
	v_and_b32_e32 v6, 0xffff, v12
	v_lshrrev_b32_e32 v7, 16, v12
	v_pk_fma_f16 v63, v15, v63, v8
	v_pk_fma_f16 v10, v15, v10, v62
	;; [unrolled: 1-line block ×3, first 2 shown]
	v_and_b32_e32 v22, 0xffff, v13
	v_lshrrev_b32_e32 v13, 16, v13
	v_mul_u32_u24_e32 v62, 0x10001, v6
	v_mul_u32_u24_e32 v65, 0x10001, v7
	ds_load_2addr_b64 v[6:9], v60 offset0:192 offset1:224
	v_mul_u32_u24_e32 v22, 0x10001, v22
	v_mul_u32_u24_e32 v13, 0x10001, v13
	v_pk_fma_f16 v11, v15, v11, v66
	v_pk_fma_f16 v15, v16, v62, v64
	;; [unrolled: 1-line block ×5, first 2 shown]
	s_wait_dscnt 0x1
	v_and_b32_e32 v10, 0xffff, v18
	v_pk_fma_f16 v14, v16, v13, v14
	v_pk_fma_f16 v16, v17, v62, v63
	v_lshrrev_b32_e32 v18, 16, v18
	v_and_b32_e32 v62, 0xffff, v19
	v_lshrrev_b32_e32 v19, 16, v19
	v_mul_u32_u24_e32 v10, 0x10001, v10
	v_pk_fma_f16 v22, v17, v22, v12
	v_mul_u32_u24_e32 v18, 0x10001, v18
	v_mul_u32_u24_e32 v62, 0x10001, v62
	;; [unrolled: 1-line block ×3, first 2 shown]
	v_pk_fma_f16 v63, v17, v13, v11
	s_wait_dscnt 0x0
	v_pk_fma_f16 v64, v6, v10, v15
	v_pk_fma_f16 v65, v7, v10, v16
	ds_load_b128 v[10:13], v52 offset:384
	v_pk_fma_f16 v23, v6, v18, v23
	v_pk_fma_f16 v60, v6, v62, v60
	;; [unrolled: 1-line block ×3, first 2 shown]
	v_and_b32_e32 v14, 0xffff, v20
	v_dual_lshrrev_b32 v15, 16, v20 :: v_dual_lshrrev_b32 v20, 16, v21
	v_and_b32_e32 v16, 0xffff, v21
	v_pk_fma_f16 v18, v7, v18, v61
	v_pk_fma_f16 v22, v7, v62, v22
	v_mul_u32_u24_e32 v21, 0x10001, v14
	v_mul_u32_u24_e32 v61, 0x10001, v15
	;; [unrolled: 1-line block ×3, first 2 shown]
	ds_load_2addr_b64 v[14:17], v4 offset1:32
	v_mul_u32_u24_e32 v66, 0x10001, v20
	v_pk_fma_f16 v7, v7, v19, v63
	v_pk_fma_f16 v63, v8, v21, v64
	;; [unrolled: 1-line block ×7, first 2 shown]
	ds_load_b128 v[18:21], v52 offset:400
	s_wait_dscnt 0x2
	v_and_b32_e32 v64, 0xffff, v10
	v_lshrrev_b32_e32 v10, 16, v10
	v_and_b32_e32 v65, 0xffff, v11
	v_lshrrev_b32_e32 v11, 16, v11
	v_pk_fma_f16 v22, v9, v62, v22
	v_mul_u32_u24_e32 v62, 0x10001, v64
	v_mul_u32_u24_e32 v10, 0x10001, v10
	;; [unrolled: 1-line block ×4, first 2 shown]
	v_pk_fma_f16 v65, v9, v66, v7
	s_wait_dscnt 0x1
	v_pk_fma_f16 v63, v14, v62, v63
	v_pk_fma_f16 v23, v14, v10, v23
	;; [unrolled: 1-line block ×4, first 2 shown]
	v_and_b32_e32 v6, 0xffff, v12
	v_lshrrev_b32_e32 v7, 16, v12
	v_pk_fma_f16 v62, v15, v62, v8
	v_pk_fma_f16 v10, v15, v10, v61
	;; [unrolled: 1-line block ×3, first 2 shown]
	v_and_b32_e32 v22, 0xffff, v13
	v_lshrrev_b32_e32 v13, 16, v13
	v_mul_u32_u24_e32 v61, 0x10001, v6
	v_mul_u32_u24_e32 v64, 0x10001, v7
	ds_load_2addr_b64 v[6:9], v4 offset0:64 offset1:96
	v_mul_u32_u24_e32 v22, 0x10001, v22
	v_mul_u32_u24_e32 v13, 0x10001, v13
	v_pk_fma_f16 v11, v15, v11, v65
	v_pk_fma_f16 v15, v16, v61, v63
	;; [unrolled: 1-line block ×7, first 2 shown]
	s_wait_dscnt 0x1
	v_and_b32_e32 v10, 0xffff, v18
	v_lshrrev_b32_e32 v18, 16, v18
	v_and_b32_e32 v62, 0xffff, v19
	v_lshrrev_b32_e32 v19, 16, v19
	v_pk_fma_f16 v22, v17, v22, v12
	v_mul_u32_u24_e32 v10, 0x10001, v10
	v_mul_u32_u24_e32 v18, 0x10001, v18
	v_mul_u32_u24_e32 v62, 0x10001, v62
	v_mul_u32_u24_e32 v19, 0x10001, v19
	v_pk_fma_f16 v63, v17, v13, v11
	s_wait_dscnt 0x0
	v_pk_fma_f16 v64, v6, v10, v15
	v_pk_fma_f16 v65, v7, v10, v16
	ds_load_b128 v[10:13], v52 offset:416
	v_pk_fma_f16 v23, v6, v18, v23
	v_pk_fma_f16 v60, v6, v62, v60
	;; [unrolled: 1-line block ×3, first 2 shown]
	v_and_b32_e32 v14, 0xffff, v20
	v_dual_lshrrev_b32 v15, 16, v20 :: v_dual_lshrrev_b32 v20, 16, v21
	v_and_b32_e32 v16, 0xffff, v21
	v_pk_fma_f16 v18, v7, v18, v61
	v_pk_fma_f16 v22, v7, v62, v22
	v_mul_u32_u24_e32 v21, 0x10001, v14
	v_mul_u32_u24_e32 v61, 0x10001, v15
	;; [unrolled: 1-line block ×3, first 2 shown]
	ds_load_2addr_b64 v[14:17], v4 offset0:128 offset1:160
	v_mul_u32_u24_e32 v66, 0x10001, v20
	v_pk_fma_f16 v7, v7, v19, v63
	v_pk_fma_f16 v63, v8, v21, v64
	;; [unrolled: 1-line block ×7, first 2 shown]
	ds_load_b128 v[18:21], v52 offset:432
	s_wait_dscnt 0x2
	v_and_b32_e32 v64, 0xffff, v10
	v_lshrrev_b32_e32 v10, 16, v10
	v_and_b32_e32 v65, 0xffff, v11
	v_lshrrev_b32_e32 v11, 16, v11
	v_pk_fma_f16 v22, v9, v62, v22
	v_mul_u32_u24_e32 v62, 0x10001, v64
	v_mul_u32_u24_e32 v10, 0x10001, v10
	v_mul_u32_u24_e32 v64, 0x10001, v65
	v_mul_u32_u24_e32 v11, 0x10001, v11
	v_pk_fma_f16 v65, v9, v66, v7
	s_wait_dscnt 0x1
	v_pk_fma_f16 v63, v14, v62, v63
	v_pk_fma_f16 v23, v14, v10, v23
	;; [unrolled: 1-line block ×4, first 2 shown]
	v_and_b32_e32 v6, 0xffff, v12
	v_lshrrev_b32_e32 v7, 16, v12
	v_pk_fma_f16 v62, v15, v62, v8
	v_pk_fma_f16 v10, v15, v10, v61
	;; [unrolled: 1-line block ×3, first 2 shown]
	v_and_b32_e32 v22, 0xffff, v13
	v_lshrrev_b32_e32 v13, 16, v13
	v_mul_u32_u24_e32 v61, 0x10001, v6
	v_mul_u32_u24_e32 v64, 0x10001, v7
	ds_load_2addr_b64 v[6:9], v4 offset0:192 offset1:224
	v_mul_u32_u24_e32 v4, 0x10001, v22
	v_mul_u32_u24_e32 v13, 0x10001, v13
	v_pk_fma_f16 v11, v15, v11, v65
	v_pk_fma_f16 v22, v16, v64, v23
	;; [unrolled: 1-line block ×5, first 2 shown]
	s_wait_dscnt 0x1
	v_and_b32_e32 v10, 0xffff, v18
	v_pk_fma_f16 v14, v16, v13, v14
	v_pk_fma_f16 v16, v17, v61, v62
	v_lshrrev_b32_e32 v18, 16, v18
	v_and_b32_e32 v61, 0xffff, v19
	v_lshrrev_b32_e32 v19, 16, v19
	v_mul_u32_u24_e32 v10, 0x10001, v10
	v_pk_fma_f16 v4, v17, v4, v12
	v_mul_u32_u24_e32 v18, 0x10001, v18
	v_mul_u32_u24_e32 v61, 0x10001, v61
	;; [unrolled: 1-line block ×3, first 2 shown]
	v_pk_fma_f16 v62, v17, v13, v11
	s_wait_dscnt 0x0
	v_pk_fma_f16 v63, v6, v10, v15
	v_pk_fma_f16 v64, v7, v10, v16
	ds_load_b128 v[10:13], v52 offset:448
	v_pk_fma_f16 v22, v6, v18, v22
	v_pk_fma_f16 v23, v6, v61, v23
	;; [unrolled: 1-line block ×3, first 2 shown]
	v_and_b32_e32 v14, 0xffff, v20
	v_dual_lshrrev_b32 v15, 16, v20 :: v_dual_lshrrev_b32 v20, 16, v21
	v_and_b32_e32 v16, 0xffff, v21
	v_pk_fma_f16 v18, v7, v18, v60
	v_pk_fma_f16 v4, v7, v61, v4
	v_mul_u32_u24_e32 v21, 0x10001, v14
	v_mul_u32_u24_e32 v60, 0x10001, v15
	;; [unrolled: 1-line block ×3, first 2 shown]
	ds_load_2addr_b64 v[14:17], v5 offset1:32
	v_mul_u32_u24_e32 v65, 0x10001, v20
	v_pk_fma_f16 v7, v7, v19, v62
	v_pk_fma_f16 v62, v8, v21, v63
	;; [unrolled: 1-line block ×7, first 2 shown]
	ds_load_b128 v[18:21], v52 offset:464
	s_wait_dscnt 0x2
	v_and_b32_e32 v63, 0xffff, v10
	v_lshrrev_b32_e32 v10, 16, v10
	v_and_b32_e32 v64, 0xffff, v11
	v_lshrrev_b32_e32 v11, 16, v11
	v_pk_fma_f16 v4, v9, v61, v4
	v_mul_u32_u24_e32 v61, 0x10001, v63
	v_mul_u32_u24_e32 v10, 0x10001, v10
	;; [unrolled: 1-line block ×4, first 2 shown]
	v_pk_fma_f16 v64, v9, v65, v7
	s_wait_dscnt 0x1
	v_pk_fma_f16 v62, v14, v61, v62
	v_pk_fma_f16 v22, v14, v10, v22
	;; [unrolled: 1-line block ×4, first 2 shown]
	v_and_b32_e32 v6, 0xffff, v12
	v_lshrrev_b32_e32 v7, 16, v12
	v_pk_fma_f16 v61, v15, v61, v8
	v_pk_fma_f16 v10, v15, v10, v60
	;; [unrolled: 1-line block ×3, first 2 shown]
	v_and_b32_e32 v12, 0xffff, v13
	v_lshrrev_b32_e32 v13, 16, v13
	v_mul_u32_u24_e32 v60, 0x10001, v6
	v_mul_u32_u24_e32 v63, 0x10001, v7
	ds_load_2addr_b64 v[6:9], v5 offset0:64 offset1:96
	v_mul_u32_u24_e32 v12, 0x10001, v12
	v_mul_u32_u24_e32 v13, 0x10001, v13
	v_pk_fma_f16 v11, v15, v11, v64
	v_pk_fma_f16 v15, v16, v60, v62
	;; [unrolled: 1-line block ×7, first 2 shown]
	s_wait_dscnt 0x1
	v_and_b32_e32 v10, 0xffff, v18
	v_lshrrev_b32_e32 v18, 16, v18
	v_and_b32_e32 v61, 0xffff, v19
	v_lshrrev_b32_e32 v19, 16, v19
	v_pk_fma_f16 v4, v17, v12, v4
	v_mul_u32_u24_e32 v10, 0x10001, v10
	v_mul_u32_u24_e32 v18, 0x10001, v18
	;; [unrolled: 1-line block ×4, first 2 shown]
	v_pk_fma_f16 v62, v17, v13, v11
	s_wait_dscnt 0x0
	v_pk_fma_f16 v63, v6, v10, v15
	v_pk_fma_f16 v64, v7, v10, v16
	ds_load_b128 v[10:13], v52 offset:480
	v_pk_fma_f16 v22, v6, v18, v22
	v_pk_fma_f16 v23, v6, v61, v23
	;; [unrolled: 1-line block ×3, first 2 shown]
	v_and_b32_e32 v14, 0xffff, v20
	v_dual_lshrrev_b32 v15, 16, v20 :: v_dual_lshrrev_b32 v20, 16, v21
	v_and_b32_e32 v16, 0xffff, v21
	v_pk_fma_f16 v18, v7, v18, v60
	v_pk_fma_f16 v4, v7, v61, v4
	v_mul_u32_u24_e32 v21, 0x10001, v14
	v_mul_u32_u24_e32 v60, 0x10001, v15
	;; [unrolled: 1-line block ×3, first 2 shown]
	ds_load_2addr_b64 v[14:17], v5 offset0:128 offset1:160
	v_mul_u32_u24_e32 v65, 0x10001, v20
	v_pk_fma_f16 v7, v7, v19, v62
	v_pk_fma_f16 v62, v8, v21, v63
	;; [unrolled: 1-line block ×7, first 2 shown]
	ds_load_b128 v[18:21], v52 offset:496
	s_wait_dscnt 0x2
	v_and_b32_e32 v63, 0xffff, v10
	v_lshrrev_b32_e32 v10, 16, v10
	v_and_b32_e32 v64, 0xffff, v11
	v_lshrrev_b32_e32 v11, 16, v11
	v_pk_fma_f16 v4, v9, v61, v4
	v_mul_u32_u24_e32 v61, 0x10001, v63
	v_mul_u32_u24_e32 v10, 0x10001, v10
	v_mul_u32_u24_e32 v63, 0x10001, v64
	v_mul_u32_u24_e32 v11, 0x10001, v11
	v_pk_fma_f16 v9, v9, v65, v7
	s_wait_dscnt 0x1
	v_pk_fma_f16 v62, v14, v61, v62
	v_pk_fma_f16 v22, v14, v10, v22
	v_pk_fma_f16 v23, v14, v63, v23
	v_pk_fma_f16 v14, v14, v11, v6
	v_and_b32_e32 v6, 0xffff, v12
	v_lshrrev_b32_e32 v7, 16, v12
	v_pk_fma_f16 v8, v15, v61, v8
	v_pk_fma_f16 v10, v15, v10, v60
	;; [unrolled: 1-line block ×3, first 2 shown]
	v_and_b32_e32 v60, 0xffff, v13
	v_lshrrev_b32_e32 v13, 16, v13
	v_mul_u32_u24_e32 v61, 0x10001, v6
	v_mul_u32_u24_e32 v63, 0x10001, v7
	ds_load_2addr_b64 v[4:7], v5 offset0:192 offset1:224
	v_mul_u32_u24_e32 v60, 0x10001, v60
	v_mul_u32_u24_e32 v13, 0x10001, v13
	s_wait_dscnt 0x0
	s_barrier_signal -1
	s_barrier_wait -1
	s_load_b32 s5, s[20:21], 0x4
	v_pk_fma_f16 v9, v15, v11, v9
	v_pk_fma_f16 v11, v16, v61, v62
	;; [unrolled: 1-line block ×5, first 2 shown]
	v_and_b32_e32 v16, 0xffff, v18
	v_lshrrev_b32_e32 v18, 16, v18
	v_and_b32_e32 v23, 0xffff, v19
	v_lshrrev_b32_e32 v19, 16, v19
	v_pk_fma_f16 v8, v17, v61, v8
	v_pk_fma_f16 v10, v17, v63, v10
	v_mul_u32_u24_e32 v16, 0x10001, v16
	v_mul_u32_u24_e32 v18, 0x10001, v18
	;; [unrolled: 1-line block ×4, first 2 shown]
	v_pk_fma_f16 v12, v17, v60, v12
	v_pk_fma_f16 v9, v17, v13, v9
	;; [unrolled: 1-line block ×8, first 2 shown]
	v_and_b32_e32 v14, 0xffff, v20
	v_dual_lshrrev_b32 v16, 16, v20 :: v_dual_lshrrev_b32 v18, 16, v21
	v_and_b32_e32 v17, 0xffff, v21
	v_pk_fma_f16 v20, v5, v23, v12
	s_delay_alu instid0(VALU_DEP_4) | instskip(NEXT) | instid1(VALU_DEP_4)
	v_mul_u32_u24_e32 v21, 0x10001, v14
	v_mul_u32_u24_e32 v16, 0x10001, v16
	;; [unrolled: 1-line block ×4, first 2 shown]
	v_pk_fma_f16 v5, v5, v19, v9
	s_wait_kmcnt 0x0
	s_lshl_b32 s5, s5, 6
	v_pk_fma_f16 v14, v6, v21, v11
	v_pk_fma_f16 v13, v6, v16, v13
	;; [unrolled: 1-line block ×8, first 2 shown]
	s_add_co_i32 s4, s5, s4
	s_delay_alu instid0(SALU_CYCLE_1)
	s_cmp_ge_i32 s4, s28
	s_cbranch_scc1 .LBB21_51
; %bb.50:                               ;   in Loop: Header=BB21_17 Depth=1
	v_dual_mov_b32 v21, v0 :: v_dual_mov_b32 v23, v1
	v_dual_mov_b32 v22, v2 :: v_dual_mov_b32 v20, v3
	s_branch .LBB21_17
.LBB21_51:
	v_mov_b32_e32 v4, v46
.LBB21_52:
	v_cmp_lt_i32_e32 vcc_lo, v59, v47
	s_cmp_lg_u64 s[12:13], 0
	s_cselect_b32 s3, -1, 0
	s_cmp_eq_u32 s29, 0
	v_cndmask_b32_e32 v5, v4, v59, vcc_lo
	v_cmp_lt_i32_e32 vcc_lo, v58, v47
	s_cselect_b32 s4, -1, 0
	s_delay_alu instid0(SALU_CYCLE_1) | instskip(NEXT) | instid1(VALU_DEP_2)
	s_and_b32 s3, s4, s3
	v_lshlrev_b32_e32 v5, 2, v5
	ds_bpermute_b32 v6, v5, v28
	ds_bpermute_b32 v7, v5, v29
	;; [unrolled: 1-line block ×4, first 2 shown]
	v_cndmask_b32_e32 v5, v4, v58, vcc_lo
	v_cmp_lt_i32_e32 vcc_lo, v57, v47
	s_delay_alu instid0(VALU_DEP_2)
	v_lshlrev_b32_e32 v5, 2, v5
	s_wait_dscnt 0x2
	v_pk_add_f32 v[6:7], v[28:29], v[6:7]
	s_wait_dscnt 0x0
	v_pk_add_f32 v[8:9], v[26:27], v[8:9]
	ds_bpermute_b32 v10, v5, v6
	ds_bpermute_b32 v11, v5, v7
	;; [unrolled: 1-line block ×4, first 2 shown]
	v_cndmask_b32_e32 v5, v4, v57, vcc_lo
	v_cmp_lt_i32_e32 vcc_lo, v56, v47
	s_delay_alu instid0(VALU_DEP_2)
	v_lshlrev_b32_e32 v5, 2, v5
	s_wait_dscnt 0x2
	v_pk_add_f32 v[6:7], v[6:7], v[10:11]
	s_wait_dscnt 0x0
	v_pk_add_f32 v[8:9], v[8:9], v[20:21]
	ds_bpermute_b32 v10, v5, v6
	ds_bpermute_b32 v11, v5, v7
	;; [unrolled: 1-line block ×4, first 2 shown]
	v_cndmask_b32_e32 v5, v4, v56, vcc_lo
	v_cmp_lt_i32_e32 vcc_lo, v55, v47
	s_delay_alu instid0(VALU_DEP_2) | instskip(SKIP_1) | instid1(VALU_DEP_1)
	v_dual_cndmask_b32 v4, v4, v55 :: v_dual_lshlrev_b32 v5, 2, v5
	s_and_b32 vcc_lo, exec_lo, s3
	v_lshlrev_b32_e32 v22, 2, v4
	s_wait_dscnt 0x2
	v_pk_add_f32 v[6:7], v[6:7], v[10:11]
	s_wait_dscnt 0x0
	v_pk_add_f32 v[8:9], v[8:9], v[20:21]
	ds_bpermute_b32 v10, v5, v6
	ds_bpermute_b32 v11, v5, v7
	;; [unrolled: 1-line block ×4, first 2 shown]
	s_wait_dscnt 0x2
	v_pk_add_f32 v[4:5], v[6:7], v[10:11]
	s_wait_dscnt 0x0
	v_pk_add_f32 v[8:9], v[8:9], v[20:21]
	ds_bpermute_b32 v6, v22, v4
	ds_bpermute_b32 v7, v22, v5
	;; [unrolled: 1-line block ×4, first 2 shown]
	s_wait_dscnt 0x2
	v_pk_add_f32 v[6:7], v[4:5], v[6:7]
	s_wait_dscnt 0x0
	v_pk_add_f32 v[4:5], v[8:9], v[10:11]
	v_add_nc_u32_e32 v8, s33, v24
	s_cbranch_vccz .LBB21_54
; %bb.53:
	s_delay_alu instid0(VALU_DEP_1) | instskip(NEXT) | instid1(VALU_DEP_1)
	v_dual_ashrrev_i32 v9, 31, v8 :: v_dual_max_num_f32 v29, v3, v3
	v_lshl_add_u64 v[10:11], v[8:9], 2, s[12:13]
	v_max_num_f32_e32 v9, v0, v0
	global_load_b128 v[20:23], v[10:11], off
	s_wait_xcnt 0x0
	v_dual_max_num_f32 v10, v1, v1 :: v_dual_max_num_f32 v11, v2, v2
	s_wait_loadcnt 0x0
	v_dual_max_num_f32 v24, v20, v20 :: v_dual_max_num_f32 v27, v21, v21
	v_dual_max_num_f32 v28, v22, v22 :: v_dual_max_num_f32 v30, v23, v23
	s_delay_alu instid0(VALU_DEP_2) | instskip(NEXT) | instid1(VALU_DEP_2)
	v_dual_max_num_f32 v26, v9, v24 :: v_dual_max_num_f32 v27, v10, v27
	v_dual_max_num_f32 v28, v11, v28 :: v_dual_max_num_f32 v29, v29, v30
	s_delay_alu instid0(VALU_DEP_2) | instskip(SKIP_1) | instid1(VALU_DEP_3)
	v_dual_sub_f32 v0, v0, v26 :: v_dual_sub_f32 v1, v1, v27
	v_dual_sub_f32 v9, v20, v26 :: v_dual_sub_f32 v10, v21, v27
	v_sub_f32_e32 v11, v2, v28
	s_delay_alu instid0(VALU_DEP_4) | instskip(SKIP_1) | instid1(VALU_DEP_4)
	v_dual_sub_f32 v20, v22, v28 :: v_dual_sub_f32 v21, v3, v29
	v_sub_f32_e32 v22, v23, v29
	v_dual_mul_f32 v2, 0x3fb8aa3b, v0 :: v_dual_mul_f32 v3, 0x3fb8aa3b, v9
	v_dual_mul_f32 v23, 0x3fb8aa3b, v1 :: v_dual_mul_f32 v24, 0x3fb8aa3b, v10
	s_delay_alu instid0(VALU_DEP_4) | instskip(NEXT) | instid1(VALU_DEP_3)
	v_mul_f32_e32 v31, 0x3fb8aa3b, v20
	v_fma_f32 v34, 0x3fb8aa3b, v0, -v2
	v_rndne_f32_e32 v35, v2
	s_delay_alu instid0(VALU_DEP_4)
	v_rndne_f32_e32 v39, v23
	v_mul_f32_e32 v32, 0x3fb8aa3b, v21
	v_fma_f32 v36, 0x3fb8aa3b, v9, -v3
	v_rndne_f32_e32 v37, v3
	v_fma_f32 v38, 0x3fb8aa3b, v1, -v23
	v_rndne_f32_e32 v41, v24
	v_fmac_f32_e32 v34, 0x32a5705f, v0
	v_sub_f32_e32 v2, v2, v35
	v_sub_f32_e32 v23, v23, v39
	v_rndne_f32_e32 v49, v32
	v_fma_f32 v40, 0x3fb8aa3b, v10, -v24
	v_rndne_f32_e32 v47, v31
	v_fma_f32 v48, 0x3fb8aa3b, v21, -v32
	v_fmac_f32_e32 v36, 0x32a5705f, v9
	v_sub_f32_e32 v3, v3, v37
	v_sub_f32_e32 v24, v24, v41
	v_dual_sub_f32 v32, v32, v49 :: v_dual_add_f32 v2, v2, v34
	v_dual_mul_f32 v30, 0x3fb8aa3b, v11 :: v_dual_mul_f32 v33, 0x3fb8aa3b, v22
	v_fma_f32 v46, 0x3fb8aa3b, v20, -v31
	v_dual_sub_f32 v31, v31, v47 :: v_dual_fmac_f32 v40, 0x32a5705f, v10
	v_add_f32_e32 v3, v3, v36
	v_exp_f32_e32 v2, v2
	v_fma_f32 v44, 0x3fb8aa3b, v11, -v30
	v_rndne_f32_e32 v45, v30
	v_rndne_f32_e32 v51, v33
	v_cvt_i32_f32_e32 v35, v35
	v_fmac_f32_e32 v38, 0x32a5705f, v1
	v_exp_f32_e32 v3, v3
	v_fma_f32 v50, 0x3fb8aa3b, v22, -v33
	v_cvt_i32_f32_e32 v37, v37
	v_dual_sub_f32 v30, v30, v45 :: v_dual_add_f32 v24, v24, v40
	v_sub_f32_e32 v33, v33, v51
	v_dual_fmac_f32 v44, 0x32a5705f, v11 :: v_dual_add_f32 v23, v23, v38
	v_ldexp_f32 v2, v2, v35
	v_cmp_ngt_f32_e32 vcc_lo, 0xc2ce8ed0, v0
	v_ldexp_f32 v3, v3, v37
	s_delay_alu instid0(VALU_DEP_4)
	v_add_f32_e32 v30, v30, v44
	v_exp_f32_e32 v23, v23
	v_cvt_i32_f32_e32 v39, v39
	v_cndmask_b32_e32 v2, 0, v2, vcc_lo
	v_cmp_ngt_f32_e32 vcc_lo, 0xc2ce8ed0, v9
	v_fmac_f32_e32 v50, 0x32a5705f, v22
	v_exp_f32_e32 v24, v24
	v_cvt_i32_f32_e32 v41, v41
	v_ldexp_f32 v23, v23, v39
	v_dual_cndmask_b32 v3, 0, v3 :: v_dual_fmac_f32 v46, 0x32a5705f, v20
	v_dual_add_f32 v33, v33, v50 :: v_dual_fmac_f32 v48, 0x32a5705f, v21
	v_cmp_ngt_f32_e32 vcc_lo, 0xc2ce8ed0, v1
	v_exp_f32_e32 v30, v30
	s_delay_alu instid0(VALU_DEP_3)
	v_add_f32_e32 v31, v31, v46
	v_cvt_i32_f32_e32 v45, v45
	v_dual_add_f32 v32, v32, v48 :: v_dual_cndmask_b32 v23, 0, v23
	v_ldexp_f32 v24, v24, v41
	v_cmp_ngt_f32_e32 vcc_lo, 0xc2ce8ed0, v10
	v_exp_f32_e32 v31, v31
	v_cvt_i32_f32_e32 v47, v47
	v_ldexp_f32 v30, v30, v45
	v_exp_f32_e32 v32, v32
	v_cndmask_b32_e32 v24, 0, v24, vcc_lo
	v_cmp_ngt_f32_e32 vcc_lo, 0xc2ce8ed0, v11
	v_cvt_i32_f32_e32 v49, v49
	v_ldexp_f32 v31, v31, v47
	v_exp_f32_e32 v33, v33
	v_cvt_i32_f32_e32 v51, v51
	v_cndmask_b32_e32 v30, 0, v30, vcc_lo
	v_cmp_ngt_f32_e32 vcc_lo, 0xc2ce8ed0, v20
	v_ldexp_f32 v32, v32, v49
	s_delay_alu instid0(TRANS32_DEP_1) | instid1(VALU_DEP_4)
	v_ldexp_f32 v33, v33, v51
	v_cndmask_b32_e32 v31, 0, v31, vcc_lo
	v_cmp_ngt_f32_e32 vcc_lo, 0xc2ce8ed0, v21
	s_delay_alu instid0(VALU_DEP_4)
	v_cndmask_b32_e32 v32, 0, v32, vcc_lo
	v_cmp_ngt_f32_e32 vcc_lo, 0xc2ce8ed0, v22
	v_cndmask_b32_e32 v33, 0, v33, vcc_lo
	v_cmp_nlt_f32_e32 vcc_lo, 0x42b17218, v0
	v_cndmask_b32_e32 v0, 0x7f800000, v2, vcc_lo
	v_cmp_nlt_f32_e32 vcc_lo, 0x42b17218, v9
	s_delay_alu instid0(VALU_DEP_2) | instskip(SKIP_2) | instid1(VALU_DEP_3)
	v_cvt_f16_f32_e32 v9, v0
	v_cndmask_b32_e32 v2, 0x7f800000, v3, vcc_lo
	v_cmp_nlt_f32_e32 vcc_lo, 0x42b17218, v1
	v_and_b32_e32 v9, 0xffff, v9
	v_cndmask_b32_e32 v1, 0x7f800000, v23, vcc_lo
	v_cmp_nlt_f32_e32 vcc_lo, 0x42b17218, v10
	v_cndmask_b32_e32 v3, 0x7f800000, v24, vcc_lo
	v_cmp_nlt_f32_e32 vcc_lo, 0x42b17218, v11
	s_delay_alu instid0(VALU_DEP_2) | instskip(SKIP_3) | instid1(VALU_DEP_3)
	v_pk_fma_f32 v[6:7], v[6:7], v[0:1], v[2:3]
	v_cndmask_b32_e32 v10, 0x7f800000, v30, vcc_lo
	v_cmp_nlt_f32_e32 vcc_lo, 0x42b17218, v20
	v_mul_u32_u24_e32 v3, 0x10001, v9
	v_cvt_f16_f32_e32 v23, v10
	v_cndmask_b32_e32 v20, 0x7f800000, v31, vcc_lo
	v_cmp_nlt_f32_e32 vcc_lo, 0x42b17218, v21
	s_delay_alu instid0(VALU_DEP_4)
	v_pk_mul_f16 v14, v14, v3
	v_pk_mul_f16 v19, v19, v3
	v_cndmask_b32_e32 v11, 0x7f800000, v32, vcc_lo
	v_cmp_nlt_f32_e32 vcc_lo, 0x42b17218, v22
	v_cvt_f16_f32_e32 v22, v1
	v_and_b32_e32 v1, 0xffff, v23
	s_delay_alu instid0(VALU_DEP_4) | instskip(SKIP_1) | instid1(VALU_DEP_4)
	v_cvt_f16_f32_e32 v24, v11
	v_cndmask_b32_e32 v21, 0x7f800000, v33, vcc_lo
	v_and_b32_e32 v0, 0xffff, v22
	s_delay_alu instid0(VALU_DEP_4) | instskip(NEXT) | instid1(VALU_DEP_4)
	v_mul_u32_u24_e32 v1, 0x10001, v1
	v_and_b32_e32 v2, 0xffff, v24
	s_delay_alu instid0(VALU_DEP_4) | instskip(NEXT) | instid1(VALU_DEP_4)
	v_pk_fma_f32 v[4:5], v[4:5], v[10:11], v[20:21]
	v_mul_u32_u24_e32 v0, 0x10001, v0
	s_delay_alu instid0(VALU_DEP_4) | instskip(SKIP_2) | instid1(VALU_DEP_4)
	v_pk_mul_f16 v12, v12, v1
	v_pk_mul_f16 v17, v17, v1
	v_mul_u32_u24_e32 v2, 0x10001, v2
	v_pk_mul_f16 v13, v13, v0
	v_pk_mul_f16 v18, v18, v0
	s_delay_alu instid0(VALU_DEP_3)
	v_pk_mul_f16 v15, v15, v2
	v_pk_mul_f16 v16, v16, v2
	v_mov_b64_e32 v[0:1], v[26:27]
	v_mov_b64_e32 v[2:3], v[28:29]
.LBB21_54:
	s_mov_b32 s3, exec_lo
	v_cmpx_gt_i32_e64 s22, v42
	s_cbranch_execz .LBB21_71
; %bb.55:
	s_load_b32 s0, s[0:1], 0xd4
	v_mov_b32_e32 v10, 1.0
	s_wait_kmcnt 0x0
	s_cmp_lg_u32 s0, 1
	s_cselect_b32 s1, -1, 0
	s_cmp_eq_u32 s0, 1
	s_cselect_b32 s3, -1, 0
	s_and_b32 vcc_lo, exec_lo, s1
	s_cbranch_vccnz .LBB21_57
; %bb.56:
	v_div_scale_f32 v9, null, v6, v6, 1.0
	s_delay_alu instid0(VALU_DEP_1) | instskip(SKIP_1) | instid1(TRANS32_DEP_1)
	v_rcp_f32_e32 v10, v9
	v_nop
	v_fma_f32 v11, -v9, v10, 1.0
	s_delay_alu instid0(VALU_DEP_1) | instskip(SKIP_1) | instid1(VALU_DEP_1)
	v_fmac_f32_e32 v10, v11, v10
	v_div_scale_f32 v11, vcc_lo, 1.0, v6, 1.0
	v_mul_f32_e32 v20, v11, v10
	s_delay_alu instid0(VALU_DEP_1) | instskip(NEXT) | instid1(VALU_DEP_1)
	v_fma_f32 v21, -v9, v20, v11
	v_fmac_f32_e32 v20, v21, v10
	s_delay_alu instid0(VALU_DEP_1) | instskip(NEXT) | instid1(VALU_DEP_1)
	v_fma_f32 v9, -v9, v20, v11
	v_div_fmas_f32 v9, v9, v10, v20
	s_delay_alu instid0(VALU_DEP_1)
	v_div_fixup_f32 v10, v9, v6, 1.0
.LBB21_57:
	v_mad_u32 v9, s2, s22, v42
	v_lshrrev_b32_e32 v11, 16, v19
	v_cvt_f32_f16_e32 v20, v14
	v_cvt_f32_f16_e32 v26, v19
	v_cmp_eq_u32_e32 vcc_lo, 0, v25
	v_mov_b32_e32 v23, 0
	v_cvt_f32_f16_e32 v27, v11
	s_and_b32 s1, vcc_lo, s1
	v_mad_u32 v8, v9, s23, v8
	s_delay_alu instid0(VALU_DEP_1) | instskip(SKIP_1) | instid1(VALU_DEP_1)
	v_mad_u32 v9, s0, v8, s29
	v_lshrrev_b32_e32 v8, 16, v14
	v_cvt_f32_f16_e32 v21, v8
	s_delay_alu instid0(VALU_DEP_1) | instskip(NEXT) | instid1(VALU_DEP_4)
	v_pk_mul_f32 v[20:21], v[10:11], v[20:21] op_sel_hi:[0,1]
	v_lshl_add_u32 v22, v9, 7, v43
	s_delay_alu instid0(VALU_DEP_1)
	v_lshl_add_u64 v[24:25], v[22:23], 2, s[16:17]
	v_pk_mul_f32 v[22:23], v[10:11], v[26:27] op_sel_hi:[0,1]
	global_store_b128 v[24:25], v[20:23], off
	s_wait_xcnt 0x0
	s_and_saveexec_b32 s2, s1
	s_cbranch_execz .LBB21_59
; %bb.58:
	v_dual_mov_b32 v10, v0 :: v_dual_mov_b32 v11, v6
	global_store_b64 v9, v[10:11], s[18:19] scale_offset
.LBB21_59:
	s_wait_xcnt 0x0
	s_or_b32 exec_lo, exec_lo, s2
	v_cndmask_b32_e64 v8, 0, 1, s3
	v_mov_b32_e32 v0, 1.0
	s_and_not1_b32 vcc_lo, exec_lo, s3
	s_cbranch_vccnz .LBB21_61
; %bb.60:
	v_div_scale_f32 v0, null, v7, v7, 1.0
	s_delay_alu instid0(VALU_DEP_1) | instskip(SKIP_1) | instid1(TRANS32_DEP_1)
	v_rcp_f32_e32 v6, v0
	v_nop
	v_fma_f32 v10, -v0, v6, 1.0
	s_delay_alu instid0(VALU_DEP_1) | instskip(SKIP_1) | instid1(VALU_DEP_1)
	v_fmac_f32_e32 v6, v10, v6
	v_div_scale_f32 v10, vcc_lo, 1.0, v7, 1.0
	v_mul_f32_e32 v11, v10, v6
	s_delay_alu instid0(VALU_DEP_1) | instskip(NEXT) | instid1(VALU_DEP_1)
	v_fma_f32 v14, -v0, v11, v10
	v_fmac_f32_e32 v11, v14, v6
	s_delay_alu instid0(VALU_DEP_1) | instskip(NEXT) | instid1(VALU_DEP_1)
	v_fma_f32 v0, -v0, v11, v10
	v_div_fmas_f32 v0, v0, v6, v11
	s_delay_alu instid0(VALU_DEP_1)
	v_div_fixup_f32 v0, v0, v7, 1.0
.LBB21_61:
	v_dual_add_nc_u32 v9, s0, v9 :: v_dual_mov_b32 v11, 0
	v_dual_lshrrev_b32 v6, 16, v13 :: v_dual_lshrrev_b32 v14, 16, v18
	v_cvt_f32_f16_e32 v20, v13
	s_delay_alu instid0(VALU_DEP_3) | instskip(SKIP_1) | instid1(VALU_DEP_4)
	v_lshl_add_u32 v10, v9, 7, v43
	v_cvt_f32_f16_e32 v22, v18
	v_cvt_f32_f16_e32 v21, v6
	;; [unrolled: 1-line block ×3, first 2 shown]
	s_delay_alu instid0(VALU_DEP_4) | instskip(NEXT) | instid1(VALU_DEP_3)
	v_lshl_add_u64 v[10:11], v[10:11], 2, s[16:17]
	v_pk_mul_f32 v[18:19], v[0:1], v[20:21] op_sel_hi:[0,1]
	s_delay_alu instid0(VALU_DEP_3)
	v_pk_mul_f32 v[20:21], v[0:1], v[22:23] op_sel_hi:[0,1]
	global_store_b128 v[10:11], v[18:21], off
	s_wait_xcnt 0x0
	s_and_saveexec_b32 s2, s1
	s_cbranch_execz .LBB21_63
; %bb.62:
	v_mov_b32_e32 v6, v1
	global_store_b64 v9, v[6:7], s[18:19] scale_offset
.LBB21_63:
	s_wait_xcnt 0x0
	s_or_b32 exec_lo, exec_lo, s2
	v_cmp_ne_u32_e32 vcc_lo, 1, v8
	v_mov_b32_e32 v0, 1.0
	s_cbranch_vccnz .LBB21_65
; %bb.64:
	v_div_scale_f32 v0, null, v4, v4, 1.0
	s_delay_alu instid0(VALU_DEP_1) | instskip(SKIP_1) | instid1(TRANS32_DEP_1)
	v_rcp_f32_e32 v1, v0
	v_nop
	v_fma_f32 v6, -v0, v1, 1.0
	s_delay_alu instid0(VALU_DEP_1) | instskip(SKIP_1) | instid1(VALU_DEP_1)
	v_fmac_f32_e32 v1, v6, v1
	v_div_scale_f32 v6, vcc_lo, 1.0, v4, 1.0
	v_mul_f32_e32 v7, v6, v1
	s_delay_alu instid0(VALU_DEP_1) | instskip(NEXT) | instid1(VALU_DEP_1)
	v_fma_f32 v10, -v0, v7, v6
	v_fmac_f32_e32 v7, v10, v1
	s_delay_alu instid0(VALU_DEP_1) | instskip(NEXT) | instid1(VALU_DEP_1)
	v_fma_f32 v0, -v0, v7, v6
	v_div_fmas_f32 v0, v0, v1, v7
	s_delay_alu instid0(VALU_DEP_1)
	v_div_fixup_f32 v0, v0, v4, 1.0
.LBB21_65:
	v_dual_add_nc_u32 v1, s0, v9 :: v_dual_lshrrev_b32 v9, 16, v12
	v_dual_mov_b32 v7, 0 :: v_dual_lshrrev_b32 v13, 16, v17
	v_cvt_f32_f16_e32 v10, v12
	s_delay_alu instid0(VALU_DEP_3) | instskip(NEXT) | instid1(VALU_DEP_4)
	v_lshl_add_u32 v6, v1, 7, v43
	v_cvt_f32_f16_e32 v11, v9
	v_cvt_f32_f16_e32 v12, v17
	;; [unrolled: 1-line block ×3, first 2 shown]
	s_delay_alu instid0(VALU_DEP_4) | instskip(NEXT) | instid1(VALU_DEP_4)
	v_lshl_add_u64 v[6:7], v[6:7], 2, s[16:17]
	v_pk_mul_f32 v[10:11], v[0:1], v[10:11] op_sel_hi:[0,1]
	s_delay_alu instid0(VALU_DEP_3)
	v_pk_mul_f32 v[12:13], v[0:1], v[12:13] op_sel_hi:[0,1]
	global_store_b128 v[6:7], v[10:13], off
	s_wait_xcnt 0x0
	s_and_saveexec_b32 s2, s1
	s_cbranch_execz .LBB21_67
; %bb.66:
	v_dual_mov_b32 v6, v2 :: v_dual_mov_b32 v7, v4
	global_store_b64 v1, v[6:7], s[18:19] scale_offset
.LBB21_67:
	s_wait_xcnt 0x0
	s_or_b32 exec_lo, exec_lo, s2
	v_cmp_ne_u32_e32 vcc_lo, 1, v8
	v_mov_b32_e32 v0, 1.0
	s_cbranch_vccnz .LBB21_69
; %bb.68:
	v_div_scale_f32 v0, null, v5, v5, 1.0
	s_delay_alu instid0(VALU_DEP_1) | instskip(SKIP_1) | instid1(TRANS32_DEP_1)
	v_rcp_f32_e32 v2, v0
	v_nop
	v_fma_f32 v4, -v0, v2, 1.0
	s_delay_alu instid0(VALU_DEP_1) | instskip(SKIP_1) | instid1(VALU_DEP_1)
	v_fmac_f32_e32 v2, v4, v2
	v_div_scale_f32 v4, vcc_lo, 1.0, v5, 1.0
	v_mul_f32_e32 v6, v4, v2
	s_delay_alu instid0(VALU_DEP_1) | instskip(NEXT) | instid1(VALU_DEP_1)
	v_fma_f32 v7, -v0, v6, v4
	v_fmac_f32_e32 v6, v7, v2
	s_delay_alu instid0(VALU_DEP_1) | instskip(NEXT) | instid1(VALU_DEP_1)
	v_fma_f32 v0, -v0, v6, v4
	v_div_fmas_f32 v0, v0, v2, v6
	s_delay_alu instid0(VALU_DEP_1)
	v_div_fixup_f32 v0, v0, v5, 1.0
.LBB21_69:
	v_dual_add_nc_u32 v1, s0, v1 :: v_dual_lshrrev_b32 v2, 16, v15
	v_dual_mov_b32 v7, 0 :: v_dual_lshrrev_b32 v4, 16, v16
	v_cvt_f32_f16_e32 v8, v15
	s_delay_alu instid0(VALU_DEP_3) | instskip(NEXT) | instid1(VALU_DEP_4)
	v_lshl_add_u32 v6, v1, 7, v43
	v_cvt_f32_f16_e32 v9, v2
	v_cvt_f32_f16_e32 v10, v16
	;; [unrolled: 1-line block ×3, first 2 shown]
	s_delay_alu instid0(VALU_DEP_4) | instskip(NEXT) | instid1(VALU_DEP_4)
	v_lshl_add_u64 v[12:13], v[6:7], 2, s[16:17]
	v_pk_mul_f32 v[6:7], v[0:1], v[8:9] op_sel_hi:[0,1]
	s_delay_alu instid0(VALU_DEP_3)
	v_pk_mul_f32 v[8:9], v[0:1], v[10:11] op_sel_hi:[0,1]
	global_store_b128 v[12:13], v[6:9], off
	s_wait_xcnt 0x0
	s_and_b32 exec_lo, exec_lo, s1
	s_cbranch_execz .LBB21_71
; %bb.70:
	v_mov_b32_e32 v4, v3
	global_store_b64 v1, v[4:5], s[18:19] scale_offset
.LBB21_71:
	s_sendmsg sendmsg(MSG_DEALLOC_VGPRS)
	s_endpgm
	.section	.rodata,"a",@progbits
	.p2align	6, 0x0
	.amdhsa_kernel _ZL15flash_attn_tileILi192ELi128ELi4ELi8ELb1EEvPKcS1_S1_S1_S1_PKiPfP15HIP_vector_typeIfLj2EEffffjfiS5_IjLj3EEiiiiiiiiiiiliiliiiiil
		.amdhsa_group_segment_fixed_size 25600
		.amdhsa_private_segment_fixed_size 0
		.amdhsa_kernarg_size 464
		.amdhsa_user_sgpr_count 2
		.amdhsa_user_sgpr_dispatch_ptr 0
		.amdhsa_user_sgpr_queue_ptr 0
		.amdhsa_user_sgpr_kernarg_segment_ptr 1
		.amdhsa_user_sgpr_dispatch_id 0
		.amdhsa_user_sgpr_kernarg_preload_length 0
		.amdhsa_user_sgpr_kernarg_preload_offset 0
		.amdhsa_user_sgpr_private_segment_size 0
		.amdhsa_wavefront_size32 1
		.amdhsa_uses_dynamic_stack 0
		.amdhsa_enable_private_segment 0
		.amdhsa_system_sgpr_workgroup_id_x 1
		.amdhsa_system_sgpr_workgroup_id_y 1
		.amdhsa_system_sgpr_workgroup_id_z 1
		.amdhsa_system_sgpr_workgroup_info 0
		.amdhsa_system_vgpr_workitem_id 1
		.amdhsa_next_free_vgpr 132
		.amdhsa_next_free_sgpr 43
		.amdhsa_named_barrier_count 0
		.amdhsa_reserve_vcc 1
		.amdhsa_float_round_mode_32 0
		.amdhsa_float_round_mode_16_64 0
		.amdhsa_float_denorm_mode_32 3
		.amdhsa_float_denorm_mode_16_64 3
		.amdhsa_fp16_overflow 0
		.amdhsa_memory_ordered 1
		.amdhsa_forward_progress 1
		.amdhsa_inst_pref_size 159
		.amdhsa_round_robin_scheduling 0
		.amdhsa_exception_fp_ieee_invalid_op 0
		.amdhsa_exception_fp_denorm_src 0
		.amdhsa_exception_fp_ieee_div_zero 0
		.amdhsa_exception_fp_ieee_overflow 0
		.amdhsa_exception_fp_ieee_underflow 0
		.amdhsa_exception_fp_ieee_inexact 0
		.amdhsa_exception_int_div_zero 0
	.end_amdhsa_kernel
	.section	.text._ZL15flash_attn_tileILi192ELi128ELi4ELi8ELb1EEvPKcS1_S1_S1_S1_PKiPfP15HIP_vector_typeIfLj2EEffffjfiS5_IjLj3EEiiiiiiiiiiiliiliiiiil,"axG",@progbits,_ZL15flash_attn_tileILi192ELi128ELi4ELi8ELb1EEvPKcS1_S1_S1_S1_PKiPfP15HIP_vector_typeIfLj2EEffffjfiS5_IjLj3EEiiiiiiiiiiiliiliiiiil,comdat
.Lfunc_end21:
	.size	_ZL15flash_attn_tileILi192ELi128ELi4ELi8ELb1EEvPKcS1_S1_S1_S1_PKiPfP15HIP_vector_typeIfLj2EEffffjfiS5_IjLj3EEiiiiiiiiiiiliiliiiiil, .Lfunc_end21-_ZL15flash_attn_tileILi192ELi128ELi4ELi8ELb1EEvPKcS1_S1_S1_S1_PKiPfP15HIP_vector_typeIfLj2EEffffjfiS5_IjLj3EEiiiiiiiiiiiliiliiiiil
                                        ; -- End function
	.set _ZL15flash_attn_tileILi192ELi128ELi4ELi8ELb1EEvPKcS1_S1_S1_S1_PKiPfP15HIP_vector_typeIfLj2EEffffjfiS5_IjLj3EEiiiiiiiiiiiliiliiiiil.num_vgpr, 132
	.set _ZL15flash_attn_tileILi192ELi128ELi4ELi8ELb1EEvPKcS1_S1_S1_S1_PKiPfP15HIP_vector_typeIfLj2EEffffjfiS5_IjLj3EEiiiiiiiiiiiliiliiiiil.num_agpr, 0
	.set _ZL15flash_attn_tileILi192ELi128ELi4ELi8ELb1EEvPKcS1_S1_S1_S1_PKiPfP15HIP_vector_typeIfLj2EEffffjfiS5_IjLj3EEiiiiiiiiiiiliiliiiiil.numbered_sgpr, 43
	.set _ZL15flash_attn_tileILi192ELi128ELi4ELi8ELb1EEvPKcS1_S1_S1_S1_PKiPfP15HIP_vector_typeIfLj2EEffffjfiS5_IjLj3EEiiiiiiiiiiiliiliiiiil.num_named_barrier, 0
	.set _ZL15flash_attn_tileILi192ELi128ELi4ELi8ELb1EEvPKcS1_S1_S1_S1_PKiPfP15HIP_vector_typeIfLj2EEffffjfiS5_IjLj3EEiiiiiiiiiiiliiliiiiil.private_seg_size, 0
	.set _ZL15flash_attn_tileILi192ELi128ELi4ELi8ELb1EEvPKcS1_S1_S1_S1_PKiPfP15HIP_vector_typeIfLj2EEffffjfiS5_IjLj3EEiiiiiiiiiiiliiliiiiil.uses_vcc, 1
	.set _ZL15flash_attn_tileILi192ELi128ELi4ELi8ELb1EEvPKcS1_S1_S1_S1_PKiPfP15HIP_vector_typeIfLj2EEffffjfiS5_IjLj3EEiiiiiiiiiiiliiliiiiil.uses_flat_scratch, 0
	.set _ZL15flash_attn_tileILi192ELi128ELi4ELi8ELb1EEvPKcS1_S1_S1_S1_PKiPfP15HIP_vector_typeIfLj2EEffffjfiS5_IjLj3EEiiiiiiiiiiiliiliiiiil.has_dyn_sized_stack, 0
	.set _ZL15flash_attn_tileILi192ELi128ELi4ELi8ELb1EEvPKcS1_S1_S1_S1_PKiPfP15HIP_vector_typeIfLj2EEffffjfiS5_IjLj3EEiiiiiiiiiiiliiliiiiil.has_recursion, 0
	.set _ZL15flash_attn_tileILi192ELi128ELi4ELi8ELb1EEvPKcS1_S1_S1_S1_PKiPfP15HIP_vector_typeIfLj2EEffffjfiS5_IjLj3EEiiiiiiiiiiiliiliiiiil.has_indirect_call, 0
	.section	.AMDGPU.csdata,"",@progbits
; Kernel info:
; codeLenInByte = 20236
; TotalNumSgprs: 45
; NumVgprs: 132
; ScratchSize: 0
; MemoryBound: 0
; FloatMode: 240
; IeeeMode: 1
; LDSByteSize: 25600 bytes/workgroup (compile time only)
; SGPRBlocks: 0
; VGPRBlocks: 8
; NumSGPRsForWavesPerEU: 45
; NumVGPRsForWavesPerEU: 132
; NamedBarCnt: 0
; Occupancy: 7
; WaveLimiterHint : 1
; COMPUTE_PGM_RSRC2:SCRATCH_EN: 0
; COMPUTE_PGM_RSRC2:USER_SGPR: 2
; COMPUTE_PGM_RSRC2:TRAP_HANDLER: 0
; COMPUTE_PGM_RSRC2:TGID_X_EN: 1
; COMPUTE_PGM_RSRC2:TGID_Y_EN: 1
; COMPUTE_PGM_RSRC2:TGID_Z_EN: 1
; COMPUTE_PGM_RSRC2:TIDIG_COMP_CNT: 1
	.section	.text._ZL15flash_attn_tileILi192ELi128ELi2ELi8ELb1EEvPKcS1_S1_S1_S1_PKiPfP15HIP_vector_typeIfLj2EEffffjfiS5_IjLj3EEiiiiiiiiiiiliiliiiiil,"axG",@progbits,_ZL15flash_attn_tileILi192ELi128ELi2ELi8ELb1EEvPKcS1_S1_S1_S1_PKiPfP15HIP_vector_typeIfLj2EEffffjfiS5_IjLj3EEiiiiiiiiiiiliiliiiiil,comdat
	.globl	_ZL15flash_attn_tileILi192ELi128ELi2ELi8ELb1EEvPKcS1_S1_S1_S1_PKiPfP15HIP_vector_typeIfLj2EEffffjfiS5_IjLj3EEiiiiiiiiiiiliiliiiiil ; -- Begin function _ZL15flash_attn_tileILi192ELi128ELi2ELi8ELb1EEvPKcS1_S1_S1_S1_PKiPfP15HIP_vector_typeIfLj2EEffffjfiS5_IjLj3EEiiiiiiiiiiiliiliiiiil
	.p2align	8
	.type	_ZL15flash_attn_tileILi192ELi128ELi2ELi8ELb1EEvPKcS1_S1_S1_S1_PKiPfP15HIP_vector_typeIfLj2EEffffjfiS5_IjLj3EEiiiiiiiiiiiliiliiiiil,@function
_ZL15flash_attn_tileILi192ELi128ELi2ELi8ELb1EEvPKcS1_S1_S1_S1_PKiPfP15HIP_vector_typeIfLj2EEffffjfiS5_IjLj3EEiiiiiiiiiiiliiliiiiil: ; @_ZL15flash_attn_tileILi192ELi128ELi2ELi8ELb1EEvPKcS1_S1_S1_S1_PKiPfP15HIP_vector_typeIfLj2EEffffjfiS5_IjLj3EEiiiiiiiiiiiliiliiiiil
; %bb.0:
	s_clause 0x1
	s_load_b128 s[20:23], s[0:1], 0x5c
	s_load_b64 s[28:29], s[0:1], 0x80
	s_bfe_u32 s5, ttmp6, 0x40014
	s_lshr_b32 s4, ttmp7, 16
	s_add_co_i32 s5, s5, 1
	s_bfe_u32 s6, ttmp6, 0x40008
	s_mul_i32 s5, s4, s5
	s_getreg_b32 s24, hwreg(HW_REG_IB_STS2, 6, 4)
	s_add_co_i32 s6, s6, s5
	s_load_b64 s[36:37], s[0:1], 0xb8
	s_mov_b32 s35, 0
	s_mov_b64 s[30:31], 0
	s_wait_kmcnt 0x0
	s_ashr_i32 s2, s23, 31
	s_delay_alu instid0(SALU_CYCLE_1) | instskip(NEXT) | instid1(SALU_CYCLE_1)
	s_lshr_b32 s2, s2, 29
	s_add_co_i32 s2, s23, s2
	s_delay_alu instid0(SALU_CYCLE_1) | instskip(NEXT) | instid1(SALU_CYCLE_1)
	s_ashr_i32 s2, s2, 3
	s_cvt_f32_u32 s3, s2
	s_sub_co_i32 s7, 0, s2
	s_delay_alu instid0(SALU_CYCLE_2) | instskip(SKIP_1) | instid1(TRANS32_DEP_1)
	v_rcp_iflag_f32_e32 v1, s3
	v_nop
	v_readfirstlane_b32 s3, v1
	s_mul_f32 s3, s3, 0x4f7ffffe
	s_delay_alu instid0(SALU_CYCLE_3) | instskip(NEXT) | instid1(SALU_CYCLE_3)
	s_cvt_u32_f32 s3, s3
	s_mul_i32 s7, s7, s3
	s_delay_alu instid0(SALU_CYCLE_1) | instskip(NEXT) | instid1(SALU_CYCLE_1)
	s_mul_hi_u32 s7, s3, s7
	s_add_co_i32 s3, s3, s7
	s_cmp_eq_u32 s24, 0
	s_cselect_b32 s4, s4, s6
	s_delay_alu instid0(SALU_CYCLE_1) | instskip(NEXT) | instid1(SALU_CYCLE_1)
	s_mul_hi_u32 s3, s4, s3
	s_mul_i32 s5, s3, s2
	s_add_co_i32 s6, s3, 1
	s_sub_co_i32 s5, s4, s5
	s_delay_alu instid0(SALU_CYCLE_1)
	s_sub_co_i32 s7, s5, s2
	s_cmp_ge_u32 s5, s2
	s_cselect_b32 s3, s6, s3
	s_cselect_b32 s5, s7, s5
	s_add_co_i32 s6, s3, 1
	s_cmp_ge_u32 s5, s2
	s_cselect_b32 s2, s6, s3
	s_abs_i32 s3, s29
	s_lshl_b32 s4, s4, 3
	s_cvt_f32_u32 s5, s3
	s_sub_co_i32 s6, 0, s3
	s_mul_i32 s7, s2, s23
	s_abs_i32 s8, s23
	v_rcp_iflag_f32_e32 v1, s5
	s_sub_co_i32 s33, s4, s7
	v_nop
	s_delay_alu instid0(TRANS32_DEP_1) | instskip(SKIP_1) | instid1(SALU_CYCLE_3)
	v_readfirstlane_b32 s5, v1
	s_mul_f32 s5, s5, 0x4f7ffffe
	s_cvt_u32_f32 s5, s5
	s_delay_alu instid0(SALU_CYCLE_3) | instskip(NEXT) | instid1(SALU_CYCLE_1)
	s_mul_i32 s6, s6, s5
	s_mul_hi_u32 s6, s5, s6
	s_delay_alu instid0(SALU_CYCLE_1) | instskip(NEXT) | instid1(SALU_CYCLE_1)
	s_add_co_i32 s5, s5, s6
	s_mul_hi_u32 s4, s8, s5
	s_xor_b32 s5, s23, s29
	s_mul_i32 s6, s4, s3
	s_ashr_i32 s25, s5, 31
	s_sub_co_i32 s5, s8, s6
	s_add_co_i32 s6, s4, 1
	s_sub_co_i32 s7, s5, s3
	s_cmp_ge_u32 s5, s3
	s_cselect_b32 s4, s6, s4
	s_cselect_b32 s5, s7, s5
	s_add_co_i32 s6, s4, 1
	s_cmp_ge_u32 s5, s3
	s_cselect_b32 s3, s6, s4
	s_load_b512 s[4:19], s[0:1], 0x0
	s_xor_b32 s3, s3, s25
	s_delay_alu instid0(SALU_CYCLE_1) | instskip(NEXT) | instid1(SALU_CYCLE_1)
	s_sub_co_i32 s3, s3, s25
	s_abs_i32 s29, s3
	s_delay_alu instid0(SALU_CYCLE_1) | instskip(NEXT) | instid1(SALU_CYCLE_3)
	s_cvt_f32_u32 s25, s29
	v_rcp_iflag_f32_e32 v1, s25
	v_nop
	s_delay_alu instid0(TRANS32_DEP_1)
	v_readfirstlane_b32 s25, v1
	s_wait_kmcnt 0x0
	s_cmp_eq_u64 s[10:11], 0
	s_cbranch_scc1 .LBB22_2
; %bb.1:
	s_abs_i32 s30, s36
	s_abs_i32 s31, s2
	s_cvt_f32_u32 s26, s30
	s_sub_co_i32 s27, 0, s30
	s_delay_alu instid0(SALU_CYCLE_2) | instskip(SKIP_1) | instid1(TRANS32_DEP_1)
	v_rcp_iflag_f32_e32 v1, s26
	v_nop
	v_readfirstlane_b32 s26, v1
	s_mul_f32 s26, s26, 0x4f7ffffe
	s_delay_alu instid0(SALU_CYCLE_3) | instskip(NEXT) | instid1(SALU_CYCLE_3)
	s_cvt_u32_f32 s26, s26
	s_mul_i32 s27, s27, s26
	s_delay_alu instid0(SALU_CYCLE_1) | instskip(NEXT) | instid1(SALU_CYCLE_1)
	s_mul_hi_u32 s27, s26, s27
	s_add_co_i32 s26, s26, s27
	s_delay_alu instid0(SALU_CYCLE_1) | instskip(SKIP_2) | instid1(SALU_CYCLE_1)
	s_mul_hi_u32 s34, s31, s26
	s_load_b64 s[26:27], s[0:1], 0xc8
	s_mul_i32 s34, s34, s30
	s_sub_co_i32 s31, s31, s34
	s_ashr_i32 s34, s2, 31
	s_sub_co_i32 s36, s31, s30
	s_cmp_ge_u32 s31, s30
	s_cselect_b32 s31, s36, s31
	s_delay_alu instid0(SALU_CYCLE_1) | instskip(SKIP_2) | instid1(SALU_CYCLE_1)
	s_sub_co_i32 s36, s31, s30
	s_cmp_ge_u32 s31, s30
	s_cselect_b32 s30, s36, s31
	s_xor_b32 s30, s30, s34
	s_delay_alu instid0(SALU_CYCLE_1) | instskip(NEXT) | instid1(SALU_CYCLE_1)
	s_sub_co_i32 s30, s30, s34
	s_ashr_i32 s31, s30, 31
	s_wait_kmcnt 0x0
	s_mul_u64 s[26:27], s[26:27], s[30:31]
	s_delay_alu instid0(SALU_CYCLE_1)
	s_add_nc_u64 s[30:31], s[10:11], s[26:27]
.LBB22_2:
	s_bfe_u32 s10, ttmp6, 0x4000c
	v_dual_lshrrev_b32 v1, 10, v0 :: v_dual_mov_b32 v3, 0
	s_add_co_i32 s10, s10, 1
	s_and_b32 s11, ttmp6, 15
	s_mul_i32 s10, ttmp9, s10
	s_delay_alu instid0(VALU_DEP_1)
	v_bfe_u32 v1, v1, 2, 8
	s_add_co_i32 s11, s11, s10
	s_cmp_eq_u32 s24, 0
	v_bfe_u32 v6, v0, 10, 10
	s_cselect_b32 s26, ttmp9, s11
	s_load_b96 s[40:42], s[0:1], 0x70
	v_lshl_add_u32 v26, s26, 1, v1
	s_delay_alu instid0(VALU_DEP_2) | instskip(SKIP_1) | instid1(VALU_DEP_3)
	v_dual_mov_b32 v17, v3 :: v_dual_lshlrev_b32 v7, 1, v6
	v_mul_u32_u24_e32 v29, 0x300, v6
	v_mul_hi_u32 v1, s20, v26
	s_delay_alu instid0(VALU_DEP_1) | instskip(SKIP_3) | instid1(VALU_DEP_1)
	v_dual_add_nc_u32 v1, v26, v1 :: v_dual_bitop2_b32 v16, 6, v7 bitop3:0x40
	s_wait_kmcnt 0x0
	s_mul_i32 s20, s33, s41
	s_ashr_i32 s11, s41, 31
	v_lshrrev_b32_e32 v1, s21, v1
	s_mov_b32 s10, s41
	s_ashr_i32 s41, s40, 31
	s_lshr_b64 s[10:11], s[10:11], 2
	s_lshr_b64 s[38:39], s[40:41], 2
	v_mul_lo_u32 v1, v1, s22
	s_ashr_i32 s21, s20, 31
	v_mul_u64_e32 v[8:9], s[10:11], v[16:17]
	v_and_b32_e32 v17, 0x3ff, v0
	s_delay_alu instid0(VALU_DEP_1) | instskip(SKIP_3) | instid1(VALU_DEP_1)
	v_lshlrev_b32_e32 v0, 4, v17
	v_cmp_gt_u32_e32 vcc_lo, 16, v17
	v_lshlrev_b32_e32 v28, 3, v17
	v_dual_mov_b32 v1, v3 :: v_dual_sub_nc_u32 v2, v26, v1
	v_mul_u64_e32 v[4:5], s[38:39], v[2:3]
	s_mul_i32 s38, s2, s42
	s_delay_alu instid0(SALU_CYCLE_1) | instskip(NEXT) | instid1(SALU_CYCLE_1)
	s_ashr_i32 s39, s38, 31
	s_add_nc_u64 s[4:5], s[4:5], s[38:39]
	s_delay_alu instid0(SALU_CYCLE_1)
	s_add_nc_u64 s[4:5], s[4:5], s[20:21]
	s_delay_alu instid0(VALU_DEP_1) | instid1(SALU_CYCLE_1)
	v_lshl_add_u64 v[4:5], v[4:5], 2, s[4:5]
	s_load_b32 s4, s[0:1], 0x40
	s_delay_alu instid0(VALU_DEP_1) | instskip(NEXT) | instid1(VALU_DEP_1)
	v_add_nc_u64_e32 v[0:1], v[4:5], v[0:1]
	v_lshl_add_u64 v[4:5], v[8:9], 2, v[0:1]
	global_load_b128 v[8:11], v[4:5], off
	s_wait_kmcnt 0x0
	s_mov_b32 s5, s4
	s_wait_loadcnt 0x0
	v_fma_mixlo_f16 v12, s4, v8, 0
	v_mov_b32_e32 v8, v11
	s_delay_alu instid0(VALU_DEP_1) | instskip(NEXT) | instid1(VALU_DEP_1)
	v_pk_mul_f32 v[8:9], s[4:5], v[8:9] op_sel_hi:[0,1]
	v_cvt_pk_f16_f32 v8, v8, v9
	v_fma_mixlo_f16 v9, s4, v10, 0
	v_and_b32_e32 v10, 0xffff, v12
	s_delay_alu instid0(VALU_DEP_3) | instskip(NEXT) | instid1(VALU_DEP_3)
	v_and_b32_e32 v11, 0xffff0000, v8
	v_and_b32_e32 v9, 0xffff, v9
	s_delay_alu instid0(VALU_DEP_2) | instskip(SKIP_1) | instid1(VALU_DEP_2)
	v_dual_lshlrev_b32 v8, 16, v8 :: v_dual_bitop2_b32 v10, v11, v10 bitop3:0x54
	v_mad_u32_u24 v11, 0x300, v6, v28
	v_or3_b32 v9, v8, v9, 0
	s_delay_alu instid0(VALU_DEP_3)
	v_or3_b32 v8, 0, 0, v10
	ds_store_b64 v11, v[8:9]
	s_and_saveexec_b32 s20, vcc_lo
	s_cbranch_execz .LBB22_4
; %bb.3:
	global_load_b128 v[8:11], v[4:5], off offset:512
	s_wait_xcnt 0x0
	v_mov_b64_e32 v[4:5], s[4:5]
	s_wait_loadcnt 0x0
	v_fma_mixlo_f16 v12, s4, v8, 0
	v_mov_b32_e32 v8, v11
	s_delay_alu instid0(VALU_DEP_1) | instskip(NEXT) | instid1(VALU_DEP_3)
	v_pk_mul_f32 v[4:5], v[4:5], v[8:9]
	v_and_b32_e32 v8, 0xffff, v12
	s_delay_alu instid0(VALU_DEP_2) | instskip(SKIP_1) | instid1(VALU_DEP_2)
	v_cvt_pk_f16_f32 v4, v4, v5
	v_fma_mixlo_f16 v5, s4, v10, 0
	v_and_b32_e32 v9, 0xffff0000, v4
	s_delay_alu instid0(VALU_DEP_2) | instskip(SKIP_1) | instid1(VALU_DEP_3)
	v_and_b32_e32 v5, 0xffff, v5
	v_lshlrev_b32_e32 v4, 16, v4
	v_or_b32_e32 v8, v9, v8
	s_delay_alu instid0(VALU_DEP_2) | instskip(NEXT) | instid1(VALU_DEP_2)
	v_or3_b32 v5, v4, v5, 0
	v_or3_b32 v4, 0, 0, v8
	v_add_nc_u32_e32 v8, v28, v29
	ds_store_b64 v8, v[4:5] offset:256
.LBB22_4:
	s_or_b32 exec_lo, exec_lo, s20
	v_bitop3_b32 v4, v7, 7, 1 bitop3:0xc8
	v_mov_b32_e32 v5, v3
	s_delay_alu instid0(VALU_DEP_1) | instskip(NEXT) | instid1(VALU_DEP_1)
	v_mul_u64_e32 v[4:5], s[10:11], v[4:5]
	v_lshl_add_u64 v[0:1], v[4:5], 2, v[0:1]
	v_mov_b64_e32 v[4:5], s[4:5]
	global_load_b128 v[8:11], v[0:1], off
	s_wait_loadcnt 0x0
	v_fma_mixlo_f16 v3, s4, v8, 0
	v_mov_b32_e32 v8, v11
	s_delay_alu instid0(VALU_DEP_1) | instskip(NEXT) | instid1(VALU_DEP_3)
	v_pk_mul_f32 v[4:5], v[4:5], v[8:9]
	v_and_b32_e32 v8, 0xffff, v3
	s_delay_alu instid0(VALU_DEP_2) | instskip(SKIP_2) | instid1(VALU_DEP_3)
	v_cvt_pk_f16_f32 v4, v4, v5
	v_fma_mixlo_f16 v5, s4, v10, 0
	v_or_b32_e32 v3, 1, v7
	v_and_b32_e32 v9, 0xffff0000, v4
	s_delay_alu instid0(VALU_DEP_3) | instskip(SKIP_1) | instid1(VALU_DEP_3)
	v_and_b32_e32 v5, 0xffff, v5
	v_lshlrev_b32_e32 v4, 16, v4
	v_or_b32_e32 v8, v9, v8
	v_mad_u32_u24 v9, 0x180, v3, v28
	s_delay_alu instid0(VALU_DEP_3) | instskip(NEXT) | instid1(VALU_DEP_3)
	v_or3_b32 v5, v4, v5, 0
	v_or3_b32 v4, 0, 0, v8
	ds_store_b64 v9, v[4:5]
	s_and_saveexec_b32 s10, vcc_lo
	s_cbranch_execz .LBB22_6
; %bb.5:
	global_load_b128 v[8:11], v[0:1], off offset:512
	s_wait_xcnt 0x0
	v_mov_b64_e32 v[0:1], s[4:5]
	v_mul_u32_u24_e32 v3, 0x180, v3
	s_delay_alu instid0(VALU_DEP_1) | instskip(SKIP_3) | instid1(VALU_DEP_2)
	v_add_nc_u32_e32 v3, v28, v3
	s_wait_loadcnt 0x0
	v_fma_mixlo_f16 v4, s4, v8, 0
	v_mov_b32_e32 v8, v11
	v_and_b32_e32 v4, 0xffff, v4
	s_delay_alu instid0(VALU_DEP_2) | instskip(NEXT) | instid1(VALU_DEP_1)
	v_pk_mul_f32 v[0:1], v[0:1], v[8:9]
	v_cvt_pk_f16_f32 v0, v0, v1
	v_fma_mixlo_f16 v1, s4, v10, 0
	s_delay_alu instid0(VALU_DEP_2) | instskip(NEXT) | instid1(VALU_DEP_2)
	v_and_b32_e32 v5, 0xffff0000, v0
	v_and_b32_e32 v1, 0xffff, v1
	v_lshlrev_b32_e32 v0, 16, v0
	s_delay_alu instid0(VALU_DEP_3) | instskip(NEXT) | instid1(VALU_DEP_2)
	v_or_b32_e32 v4, v5, v4
	v_or3_b32 v1, v0, v1, 0
	s_delay_alu instid0(VALU_DEP_2)
	v_or3_b32 v0, 0, 0, v4
	ds_store_b64 v3, v[0:1] offset:256
.LBB22_6:
	s_or_b32 exec_lo, exec_lo, s10
	s_cmp_eq_u64 s[14:15], 0
	s_wait_dscnt 0x0
	s_barrier_signal -1
	s_barrier_wait -1
	s_cbranch_scc1 .LBB22_8
; %bb.7:
	s_load_b32 s4, s[0:1], 0xd0
	s_wait_kmcnt 0x0
	s_mul_i32 s4, s4, s2
	s_delay_alu instid0(SALU_CYCLE_1)
	s_add_co_i32 s4, s4, s26
	s_load_b32 s28, s[14:15], s4 offset:0x0 scale_offset
.LBB22_8:
	s_wait_xcnt 0x0
	s_bfe_u32 s4, ttmp6, 0x40010
	s_and_b32 s5, ttmp7, 0xffff
	s_add_co_i32 s4, s4, 1
	s_bfe_u32 s10, ttmp6, 0x40004
	s_mul_i32 s4, s5, s4
	v_mbcnt_lo_u32_b32 v30, -1, 0
	s_add_co_i32 s10, s10, s4
	s_cmp_eq_u32 s24, 0
	s_cselect_b32 s20, s5, s10
	s_mov_b32 s5, 0
	s_lshl_b32 s4, s20, 5
	s_wait_kmcnt 0x0
	s_cmp_lt_i32 s4, s28
	s_cbranch_scc1 .LBB22_11
; %bb.9:
	v_mbcnt_lo_u32_b32 v0, -1, 0
	s_delay_alu instid0(VALU_DEP_1)
	v_dual_mov_b32 v31, 32 :: v_dual_bitop2_b32 v43, 16, v0 bitop3:0x14
	v_xor_b32_e32 v39, 8, v0
	v_xor_b32_e32 v40, 4, v0
	;; [unrolled: 1-line block ×3, first 2 shown]
	v_dual_lshlrev_b32 v27, 2, v17 :: v_dual_bitop2_b32 v42, 1, v0 bitop3:0x14
	s_and_not1_b32 vcc_lo, exec_lo, s5
	s_cbranch_vccz .LBB22_12
; %bb.10:
	v_dual_mov_b32 v25, 0xfeffffff :: v_dual_mov_b32 v38, 0
	v_dual_mov_b32 v19, 0 :: v_dual_mov_b32 v37, 0
	;; [unrolled: 1-line block ×3, first 2 shown]
	s_delay_alu instid0(VALU_DEP_2)
	v_dual_mov_b32 v24, v25 :: v_dual_mov_b32 v18, v19
	s_branch .LBB22_24
.LBB22_11:
                                        ; implicit-def: $vgpr0
                                        ; implicit-def: $vgpr31
                                        ; implicit-def: $vgpr43
                                        ; implicit-def: $vgpr39
                                        ; implicit-def: $vgpr40
                                        ; implicit-def: $vgpr41
                                        ; implicit-def: $vgpr42
	v_lshlrev_b32_e32 v27, 2, v17
.LBB22_12:
	s_mul_f32 s5, s25, 0x4f7ffffe
	s_clause 0x1
	s_load_b128 s[24:27], s[0:1], 0x98
	s_load_b64 s[14:15], s[0:1], 0x8c
	s_sub_co_i32 s10, 0, s29
	s_ashr_i32 s38, s3, 31
	s_cvt_u32_f32 s5, s5
	s_abs_i32 s34, s33
	s_mov_b32 s11, s35
	v_dual_lshrrev_b32 v0, 3, v17 :: v_dual_lshrrev_b32 v1, 4, v17
	s_mul_i32 s10, s10, s5
	s_ashr_i32 s21, s33, 31
	s_mul_hi_u32 s3, s5, s10
	s_delay_alu instid0(VALU_DEP_1)
	v_lshl_add_u32 v3, v6, 2, v0
	s_add_co_i32 s10, s5, s3
	s_ashr_i32 s39, s37, 1
	s_mul_u64 s[10:11], s[34:35], s[10:11]
	s_ashr_i32 s3, s2, 31
	s_mul_i32 s5, s11, s29
	s_xor_b32 s21, s21, s38
	s_sub_co_i32 s5, s34, s5
	s_wait_kmcnt 0x0
	s_ashr_i32 s10, s26, 2
	s_ashr_i32 s14, s14, 2
	s_add_co_i32 s26, s11, 1
	s_sub_co_i32 s34, s5, s29
	s_cmp_ge_u32 s5, s29
	v_mul_lo_u32 v0, s14, v3
	s_cselect_b32 s11, s26, s11
	s_load_b64 s[36:37], s[0:1], 0xa8
	s_cselect_b32 s5, s34, s5
	s_add_co_i32 s26, s11, 1
	s_cmp_ge_u32 s5, s29
	v_add_nc_u32_e32 v7, v1, v7
	s_cselect_b32 s5, s26, s11
	s_mul_u64 s[24:25], s[24:25], s[2:3]
	s_xor_b32 s5, s5, s21
	v_dual_mov_b32 v9, 0 :: v_dual_bitop2_b32 v5, 28, v27 bitop3:0x40
	s_sub_co_i32 s5, s5, s21
	v_ashrrev_i32_e32 v1, 31, v0
	s_mul_i32 s34, s5, s15
	v_mul_lo_u32 v4, s10, v7
	s_add_nc_u64 s[6:7], s[6:7], s[24:25]
	s_ashr_i32 s35, s34, 31
	v_mul_u32_u24_e32 v3, 0x90, v3
	s_add_nc_u64 s[6:7], s[6:7], s[34:35]
	v_dual_lshlrev_b32 v8, 2, v5 :: v_dual_bitop2_b32 v5, 60, v27 bitop3:0x40
	v_lshl_add_u64 v[0:1], v[0:1], 2, s[6:7]
	s_load_b32 s21, s[0:1], 0x54
	s_wait_kmcnt 0x0
	s_mul_u64 s[24:25], s[36:37], s[2:3]
	s_mul_i32 s26, s5, s27
	v_add3_u32 v32, v3, v8, 0x1800
	v_add_nc_u64_e32 v[20:21], v[0:1], v[8:9]
	v_dual_lshlrev_b32 v8, 2, v5 :: v_dual_ashrrev_i32 v5, 31, v4
	s_add_nc_u64 s[6:7], s[8:9], s[24:25]
	s_ashr_i32 s27, s26, 31
	v_mad_u32 v34, v2, s39, v17
	s_add_nc_u64 s[6:7], s[6:7], s[26:27]
	v_lshl_or_b32 v3, v7, 8, v8
	v_lshl_add_u64 v[0:1], v[4:5], 2, s[6:7]
	s_movk_i32 s3, 0x1800
	v_lshl_add_u32 v35, v6, 7, 0x2a00
	v_mad_u32_u24 v33, 0x90, v17, s3
	v_dual_mov_b32 v31, 32 :: v_dual_add_nc_u32 v36, 0x1800, v3
	v_add_nc_u64_e32 v[22:23], v[0:1], v[8:9]
	v_dual_mov_b32 v3, 0xfeffffff :: v_dual_mov_b32 v8, v9
	v_dual_mov_b32 v38, v9 :: v_dual_mov_b32 v37, v9
	;; [unrolled: 1-line block ×3, first 2 shown]
	v_mov_b32_e32 v18, v9
	s_ashr_i32 s15, s14, 31
	s_ashr_i32 s11, s10, 31
	s_add_nc_u64 s[6:7], s[0:1], 0xd0
	s_mov_b32 s3, 0xbbbac73d
.LBB22_13:                              ; =>This Inner Loop Header: Depth=1
	s_ashr_i32 s5, s4, 31
	v_mov_b32_e32 v14, 0
	s_mul_u64 s[8:9], s[4:5], s[14:15]
	s_delay_alu instid0(SALU_CYCLE_1)
	v_lshl_add_u64 v[0:1], s[8:9], 2, v[20:21]
	global_load_b128 v[4:7], v[0:1], off
	s_wait_loadcnt 0x0
	ds_store_b128 v32, v[4:7]
	s_wait_dscnt 0x0
	s_barrier_signal -1
	s_barrier_wait -1
	ds_load_b128 v[10:13], v33
	ds_load_b128 v[40:43], v29
	ds_load_b128 v[44:47], v29 offset:384
	v_mov_b32_e32 v4, 0
	s_wait_dscnt 0x1
	;;#ASMSTART
	v_dot2_f32_f16 v4, v10, v40, v4
	;;#ASMEND
	;;#ASMSTART
	v_dot2_f32_f16 v4, v11, v41, v4
	;;#ASMEND
	;;#ASMSTART
	v_dot2_f32_f16 v4, v12, v42, v4
	;;#ASMEND
	;;#ASMSTART
	v_dot2_f32_f16 v4, v13, v43, v4
	;;#ASMEND
	s_wait_dscnt 0x0
	;;#ASMSTART
	v_dot2_f32_f16 v14, v10, v44, v14
	;;#ASMEND
	;;#ASMSTART
	v_dot2_f32_f16 v14, v11, v45, v14
	;;#ASMEND
	;;#ASMSTART
	v_dot2_f32_f16 v14, v12, v46, v14
	;;#ASMEND
	;;#ASMSTART
	v_dot2_f32_f16 v14, v13, v47, v14
	;;#ASMEND
	ds_load_b128 v[10:13], v33 offset:16
	ds_load_b128 v[40:43], v29 offset:16
	ds_load_b128 v[44:47], v29 offset:400
	s_wait_dscnt 0x1
	;;#ASMSTART
	v_dot2_f32_f16 v4, v10, v40, v4
	;;#ASMEND
	;;#ASMSTART
	v_dot2_f32_f16 v4, v11, v41, v4
	;;#ASMEND
	;;#ASMSTART
	v_dot2_f32_f16 v4, v12, v42, v4
	;;#ASMEND
	;;#ASMSTART
	v_dot2_f32_f16 v4, v13, v43, v4
	;;#ASMEND
	s_wait_dscnt 0x0
	;;#ASMSTART
	v_dot2_f32_f16 v14, v10, v44, v14
	;;#ASMEND
	;;#ASMSTART
	v_dot2_f32_f16 v14, v11, v45, v14
	;;#ASMEND
	;;#ASMSTART
	v_dot2_f32_f16 v14, v12, v46, v14
	;;#ASMEND
	;;#ASMSTART
	v_dot2_f32_f16 v14, v13, v47, v14
	;;#ASMEND
	ds_load_b128 v[10:13], v33 offset:32
	ds_load_b128 v[40:43], v29 offset:32
	ds_load_b128 v[44:47], v29 offset:416
	;; [unrolled: 29-line block ×7, first 2 shown]
	s_wait_dscnt 0x1
	;;#ASMSTART
	v_dot2_f32_f16 v4, v10, v40, v4
	;;#ASMEND
	;;#ASMSTART
	v_dot2_f32_f16 v4, v11, v41, v4
	;;#ASMEND
	;;#ASMSTART
	v_dot2_f32_f16 v4, v12, v42, v4
	;;#ASMEND
	;;#ASMSTART
	v_dot2_f32_f16 v4, v13, v43, v4
	;;#ASMEND
	s_wait_dscnt 0x0
	;;#ASMSTART
	v_dot2_f32_f16 v14, v10, v44, v14
	;;#ASMEND
	;;#ASMSTART
	v_dot2_f32_f16 v14, v11, v45, v14
	;;#ASMEND
	;;#ASMSTART
	v_dot2_f32_f16 v14, v12, v46, v14
	;;#ASMEND
	;;#ASMSTART
	v_dot2_f32_f16 v14, v13, v47, v14
	;;#ASMEND
	s_barrier_signal -1
	s_barrier_wait -1
	global_load_b128 v[10:13], v[0:1], off offset:128
	s_wait_loadcnt 0x0
	ds_store_b128 v32, v[10:13]
	s_wait_dscnt 0x0
	s_barrier_signal -1
	s_barrier_wait -1
	ds_load_b128 v[10:13], v33
	ds_load_b128 v[40:43], v29 offset:128
	ds_load_b128 v[44:47], v29 offset:512
	s_wait_dscnt 0x1
	;;#ASMSTART
	v_dot2_f32_f16 v4, v10, v40, v4
	;;#ASMEND
	;;#ASMSTART
	v_dot2_f32_f16 v4, v11, v41, v4
	;;#ASMEND
	;;#ASMSTART
	v_dot2_f32_f16 v4, v12, v42, v4
	;;#ASMEND
	;;#ASMSTART
	v_dot2_f32_f16 v4, v13, v43, v4
	;;#ASMEND
	s_wait_dscnt 0x0
	;;#ASMSTART
	v_dot2_f32_f16 v14, v10, v44, v14
	;;#ASMEND
	;;#ASMSTART
	v_dot2_f32_f16 v14, v11, v45, v14
	;;#ASMEND
	;;#ASMSTART
	v_dot2_f32_f16 v14, v12, v46, v14
	;;#ASMEND
	;;#ASMSTART
	v_dot2_f32_f16 v14, v13, v47, v14
	;;#ASMEND
	ds_load_b128 v[10:13], v33 offset:16
	ds_load_b128 v[40:43], v29 offset:144
	ds_load_b128 v[44:47], v29 offset:528
	s_wait_dscnt 0x1
	;;#ASMSTART
	v_dot2_f32_f16 v4, v10, v40, v4
	;;#ASMEND
	;;#ASMSTART
	v_dot2_f32_f16 v4, v11, v41, v4
	;;#ASMEND
	;;#ASMSTART
	v_dot2_f32_f16 v4, v12, v42, v4
	;;#ASMEND
	;;#ASMSTART
	v_dot2_f32_f16 v4, v13, v43, v4
	;;#ASMEND
	s_wait_dscnt 0x0
	;;#ASMSTART
	v_dot2_f32_f16 v14, v10, v44, v14
	;;#ASMEND
	;;#ASMSTART
	v_dot2_f32_f16 v14, v11, v45, v14
	;;#ASMEND
	;;#ASMSTART
	v_dot2_f32_f16 v14, v12, v46, v14
	;;#ASMEND
	;;#ASMSTART
	v_dot2_f32_f16 v14, v13, v47, v14
	;;#ASMEND
	ds_load_b128 v[10:13], v33 offset:32
	;; [unrolled: 29-line block ×7, first 2 shown]
	ds_load_b128 v[40:43], v29 offset:240
	ds_load_b128 v[44:47], v29 offset:624
	s_wait_dscnt 0x1
	;;#ASMSTART
	v_dot2_f32_f16 v4, v10, v40, v4
	;;#ASMEND
	;;#ASMSTART
	v_dot2_f32_f16 v4, v11, v41, v4
	;;#ASMEND
	;; [unrolled: 3-line block ×4, first 2 shown]
	s_wait_dscnt 0x0
	;;#ASMSTART
	v_dot2_f32_f16 v14, v10, v44, v14
	;;#ASMEND
	;;#ASMSTART
	v_dot2_f32_f16 v14, v11, v45, v14
	;;#ASMEND
	;; [unrolled: 3-line block ×4, first 2 shown]
	s_barrier_signal -1
	s_barrier_wait -1
	global_load_b128 v[10:13], v[0:1], off offset:256
	s_wait_xcnt 0x0
	v_add_nc_u32_e32 v0, s4, v34
                                        ; implicit-def: $vgpr1
	s_wait_loadcnt 0x0
	ds_store_b128 v32, v[10:13]
	s_wait_dscnt 0x0
	s_barrier_signal -1
	s_barrier_wait -1
	ds_load_b128 v[10:13], v33
	ds_load_b128 v[40:43], v29 offset:256
	ds_load_b128 v[44:47], v29 offset:640
	s_wait_dscnt 0x1
	;;#ASMSTART
	v_dot2_f32_f16 v4, v10, v40, v4
	;;#ASMEND
	;;#ASMSTART
	v_dot2_f32_f16 v4, v11, v41, v4
	;;#ASMEND
	;;#ASMSTART
	v_dot2_f32_f16 v4, v12, v42, v4
	;;#ASMEND
	;;#ASMSTART
	v_dot2_f32_f16 v4, v13, v43, v4
	;;#ASMEND
	s_wait_dscnt 0x0
	;;#ASMSTART
	v_dot2_f32_f16 v14, v10, v44, v14
	;;#ASMEND
	;;#ASMSTART
	v_dot2_f32_f16 v14, v11, v45, v14
	;;#ASMEND
	;;#ASMSTART
	v_dot2_f32_f16 v14, v12, v46, v14
	;;#ASMEND
	;;#ASMSTART
	v_dot2_f32_f16 v14, v13, v47, v14
	;;#ASMEND
	ds_load_b128 v[10:13], v33 offset:16
	ds_load_b128 v[40:43], v29 offset:272
	ds_load_b128 v[44:47], v29 offset:656
	s_wait_dscnt 0x1
	;;#ASMSTART
	v_dot2_f32_f16 v4, v10, v40, v4
	;;#ASMEND
	;;#ASMSTART
	v_dot2_f32_f16 v4, v11, v41, v4
	;;#ASMEND
	;;#ASMSTART
	v_dot2_f32_f16 v4, v12, v42, v4
	;;#ASMEND
	;;#ASMSTART
	v_dot2_f32_f16 v4, v13, v43, v4
	;;#ASMEND
	s_wait_dscnt 0x0
	;;#ASMSTART
	v_dot2_f32_f16 v14, v10, v44, v14
	;;#ASMEND
	;;#ASMSTART
	v_dot2_f32_f16 v14, v11, v45, v14
	;;#ASMEND
	;;#ASMSTART
	v_dot2_f32_f16 v14, v12, v46, v14
	;;#ASMEND
	;;#ASMSTART
	v_dot2_f32_f16 v14, v13, v47, v14
	;;#ASMEND
	ds_load_b128 v[10:13], v33 offset:32
	;; [unrolled: 29-line block ×7, first 2 shown]
	ds_load_b128 v[40:43], v29 offset:368
	ds_load_b128 v[44:47], v29 offset:752
	s_wait_dscnt 0x1
	;;#ASMSTART
	v_dot2_f32_f16 v4, v10, v40, v4
	;;#ASMEND
	;;#ASMSTART
	v_dot2_f32_f16 v4, v11, v41, v4
	;;#ASMEND
	;; [unrolled: 3-line block ×4, first 2 shown]
	s_wait_dscnt 0x0
	;;#ASMSTART
	v_dot2_f32_f16 v14, v10, v44, v14
	;;#ASMEND
	;;#ASMSTART
	v_dot2_f32_f16 v14, v11, v45, v14
	;;#ASMEND
	;; [unrolled: 3-line block ×4, first 2 shown]
	global_load_u16 v0, v0, s[30:31] scale_offset
	v_cmp_ngt_f32_e64 s8, 0x3f200000, |v4|
	s_wait_xcnt 0x0
	s_and_saveexec_b32 s9, s8
	s_delay_alu instid0(SALU_CYCLE_1)
	s_xor_b32 s8, exec_lo, s9
	s_cbranch_execz .LBB22_15
; %bb.14:                               ;   in Loop: Header=BB22_13 Depth=1
	v_add_f32_e64 v1, |v4|, |v4|
	s_delay_alu instid0(VALU_DEP_1) | instskip(SKIP_1) | instid1(VALU_DEP_2)
	v_mul_f32_e32 v5, 0x3fb8aa3b, v1
	v_cmp_ngt_f32_e32 vcc_lo, 0xc2ce8ed0, v1
	v_rndne_f32_e32 v6, v5
	v_fma_f32 v7, 0x3fb8aa3b, v1, -v5
	s_delay_alu instid0(VALU_DEP_2) | instskip(NEXT) | instid1(VALU_DEP_2)
	v_sub_f32_e32 v5, v5, v6
	v_fmac_f32_e32 v7, 0x32a5705f, v1
	v_cvt_i32_f32_e32 v6, v6
	s_delay_alu instid0(VALU_DEP_2) | instskip(NEXT) | instid1(VALU_DEP_1)
	v_add_f32_e32 v5, v5, v7
	v_exp_f32_e32 v5, v5
	v_nop
	s_delay_alu instid0(TRANS32_DEP_1) | instskip(NEXT) | instid1(VALU_DEP_1)
	v_ldexp_f32 v5, v5, v6
	v_cndmask_b32_e32 v5, 0, v5, vcc_lo
	v_cmp_nlt_f32_e32 vcc_lo, 0x42b17218, v1
	s_delay_alu instid0(VALU_DEP_2) | instskip(NEXT) | instid1(VALU_DEP_1)
	v_cndmask_b32_e32 v1, 0x7f800000, v5, vcc_lo
	v_add_f32_e32 v1, 1.0, v1
	s_delay_alu instid0(VALU_DEP_1) | instskip(SKIP_1) | instid1(TRANS32_DEP_1)
	v_rcp_f32_e32 v1, v1
	v_nop
	v_fma_f32 v1, v1, -2.0, 1.0
.LBB22_15:                              ;   in Loop: Header=BB22_13 Depth=1
	s_and_not1_saveexec_b32 s8, s8
	s_cbranch_execz .LBB22_17
; %bb.16:                               ;   in Loop: Header=BB22_13 Depth=1
	v_mul_f32_e32 v1, v4, v4
	s_delay_alu instid0(VALU_DEP_1) | instskip(NEXT) | instid1(VALU_DEP_1)
	v_fmaak_f32 v5, s3, v1, 0x3ca908c9
	v_fmaak_f32 v5, v1, v5, 0xbd5c1c4e
	s_delay_alu instid0(VALU_DEP_1) | instskip(NEXT) | instid1(VALU_DEP_1)
	v_fmaak_f32 v5, v1, v5, 0x3e088382
	v_fmaak_f32 v5, v1, v5, 0xbeaaaa99
	s_delay_alu instid0(VALU_DEP_1) | instskip(NEXT) | instid1(VALU_DEP_1)
	v_mul_f32_e64 v5, |v4|, v5
	v_fma_f32 v1, v1, v5, |v4|
.LBB22_17:                              ;   in Loop: Header=BB22_13 Depth=1
	s_or_b32 exec_lo, exec_lo, s8
	s_delay_alu instid0(VALU_DEP_1)
	v_bfi_b32 v1, 0x7fffffff, v1, v4
	v_dual_max_num_f32 v6, v3, v3 :: v_dual_bitop2_b32 v43, 16, v30 bitop3:0x14
	v_cmp_ngt_f32_e64 s8, 0x3f200000, |v14|
	v_xor_b32_e32 v40, 4, v30
	s_wait_loadcnt 0x0
	v_fma_mix_f32 v1, s21, v1, v0 op_sel_hi:[0,0,1]
	v_cmp_gt_i32_e32 vcc_lo, 32, v43
	v_xor_b32_e32 v41, 2, v30
	v_xor_b32_e32 v42, 1, v30
	s_delay_alu instid0(VALU_DEP_4) | instskip(NEXT) | instid1(VALU_DEP_1)
	v_dual_add_f32 v5, 0x40051340, v1 :: v_dual_cndmask_b32 v4, v30, v43
	v_dual_max_num_f32 v6, v6, v5 :: v_dual_lshlrev_b32 v4, 2, v4
	ds_bpermute_b32 v5, v4, v6
	s_wait_dscnt 0x0
	v_dual_max_num_f32 v10, v5, v5 :: v_dual_bitop2_b32 v39, 8, v30 bitop3:0x14
	s_delay_alu instid0(VALU_DEP_1) | instskip(SKIP_2) | instid1(VALU_DEP_2)
	v_cmp_gt_i32_e32 vcc_lo, 32, v39
	v_cndmask_b32_e32 v7, v30, v39, vcc_lo
	v_cmp_gt_i32_e32 vcc_lo, 32, v40
	v_dual_lshlrev_b32 v5, 2, v7 :: v_dual_max_num_f32 v7, v6, v10
	v_cndmask_b32_e32 v10, v30, v40, vcc_lo
	v_cmp_gt_i32_e32 vcc_lo, 32, v41
	ds_bpermute_b32 v6, v5, v7
	s_wait_dscnt 0x0
	v_max_num_f32_e32 v11, v6, v6
	s_delay_alu instid0(VALU_DEP_1)
	v_dual_lshlrev_b32 v6, 2, v10 :: v_dual_max_num_f32 v10, v7, v11
	v_cndmask_b32_e32 v11, v30, v41, vcc_lo
	v_cmp_gt_i32_e32 vcc_lo, 32, v42
	ds_bpermute_b32 v7, v6, v10
	s_wait_dscnt 0x0
	v_max_num_f32_e32 v12, v7, v7
	s_delay_alu instid0(VALU_DEP_1) | instskip(SKIP_3) | instid1(VALU_DEP_1)
	v_dual_max_num_f32 v10, v10, v12 :: v_dual_lshlrev_b32 v7, 2, v11
	ds_bpermute_b32 v11, v7, v10
	s_wait_dscnt 0x0
	v_dual_cndmask_b32 v12, v30, v42 :: v_dual_max_num_f32 v13, v11, v11
	v_dual_max_num_f32 v10, v10, v13 :: v_dual_lshlrev_b32 v11, 2, v12
                                        ; implicit-def: $vgpr13
	ds_bpermute_b32 v12, v11, v10
	s_and_saveexec_b32 s9, s8
	s_delay_alu instid0(SALU_CYCLE_1)
	s_xor_b32 s8, exec_lo, s9
	s_cbranch_execz .LBB22_19
; %bb.18:                               ;   in Loop: Header=BB22_13 Depth=1
	v_add_f32_e64 v13, |v14|, |v14|
	s_delay_alu instid0(VALU_DEP_1) | instskip(SKIP_1) | instid1(VALU_DEP_2)
	v_mul_f32_e32 v15, 0x3fb8aa3b, v13
	v_cmp_ngt_f32_e32 vcc_lo, 0xc2ce8ed0, v13
	v_rndne_f32_e32 v24, v15
	v_fma_f32 v25, 0x3fb8aa3b, v13, -v15
	s_delay_alu instid0(VALU_DEP_2) | instskip(NEXT) | instid1(VALU_DEP_2)
	v_sub_f32_e32 v15, v15, v24
	v_fmac_f32_e32 v25, 0x32a5705f, v13
	v_cvt_i32_f32_e32 v24, v24
	s_delay_alu instid0(VALU_DEP_2) | instskip(NEXT) | instid1(VALU_DEP_1)
	v_add_f32_e32 v15, v15, v25
	v_exp_f32_e32 v15, v15
	v_nop
	s_delay_alu instid0(TRANS32_DEP_1) | instskip(NEXT) | instid1(VALU_DEP_1)
	v_ldexp_f32 v15, v15, v24
	v_cndmask_b32_e32 v15, 0, v15, vcc_lo
	v_cmp_nlt_f32_e32 vcc_lo, 0x42b17218, v13
	s_delay_alu instid0(VALU_DEP_2) | instskip(NEXT) | instid1(VALU_DEP_1)
	v_cndmask_b32_e32 v13, 0x7f800000, v15, vcc_lo
	v_add_f32_e32 v13, 1.0, v13
	s_delay_alu instid0(VALU_DEP_1) | instskip(SKIP_1) | instid1(TRANS32_DEP_1)
	v_rcp_f32_e32 v13, v13
	v_nop
	v_fma_f32 v13, v13, -2.0, 1.0
.LBB22_19:                              ;   in Loop: Header=BB22_13 Depth=1
	s_and_not1_saveexec_b32 s8, s8
	s_cbranch_execz .LBB22_21
; %bb.20:                               ;   in Loop: Header=BB22_13 Depth=1
	v_mul_f32_e32 v13, v14, v14
	s_delay_alu instid0(VALU_DEP_1) | instskip(NEXT) | instid1(VALU_DEP_1)
	v_fmaak_f32 v15, s3, v13, 0x3ca908c9
	v_fmaak_f32 v15, v13, v15, 0xbd5c1c4e
	s_delay_alu instid0(VALU_DEP_1) | instskip(NEXT) | instid1(VALU_DEP_1)
	v_fmaak_f32 v15, v13, v15, 0x3e088382
	v_fmaak_f32 v15, v13, v15, 0xbeaaaa99
	s_delay_alu instid0(VALU_DEP_1) | instskip(NEXT) | instid1(VALU_DEP_1)
	v_mul_f32_e64 v15, |v14|, v15
	v_fma_f32 v13, v13, v15, |v14|
.LBB22_21:                              ;   in Loop: Header=BB22_13 Depth=1
	s_or_b32 exec_lo, exec_lo, s8
	s_mul_u64 s[8:9], s[4:5], s[10:11]
	s_wait_dscnt 0x0
	v_lshl_add_u64 v[24:25], s[8:9], 2, v[22:23]
	s_barrier_signal -1
	s_barrier_wait -1
	v_cvt_f32_f16_e32 v0, v0
	global_load_b128 v[46:49], v[24:25], off
	v_bfi_b32 v13, 0x7fffffff, v13, v14
	v_add_nc_u32_e32 v44, 0x1800, v28
	v_add_nc_u32_e32 v45, 0x2000, v28
	s_or_b32 s8, s4, 16
	s_delay_alu instid0(VALU_DEP_3) | instskip(SKIP_1) | instid1(SALU_CYCLE_1)
	v_dual_fmac_f32 v0, s21, v13 :: v_dual_max_num_f32 v13, v2, v2
	s_ashr_i32 s9, s8, 31
	s_mul_u64 s[8:9], s[8:9], s[10:11]
	s_delay_alu instid0(VALU_DEP_1) | instskip(NEXT) | instid1(VALU_DEP_1)
	v_add_f32_e32 v14, 0x40051340, v0
	v_max_num_f32_e32 v13, v13, v14
	ds_bpermute_b32 v4, v4, v13
	s_wait_dscnt 0x0
	v_max_num_f32_e32 v4, v4, v4
	s_delay_alu instid0(VALU_DEP_1) | instskip(SKIP_3) | instid1(VALU_DEP_1)
	v_max_num_f32_e32 v4, v13, v4
	ds_bpermute_b32 v5, v5, v4
	s_wait_dscnt 0x0
	v_max_num_f32_e32 v5, v5, v5
	v_max_num_f32_e32 v4, v4, v5
	ds_bpermute_b32 v5, v6, v4
	s_wait_dscnt 0x0
	v_dual_max_num_f32 v6, v12, v12 :: v_dual_max_num_f32 v5, v5, v5
	s_delay_alu instid0(VALU_DEP_1) | instskip(SKIP_3) | instid1(VALU_DEP_1)
	v_max_num_f32_e32 v4, v4, v5
	ds_bpermute_b32 v5, v7, v4
	v_max_num_f32_e32 v7, v10, v10
	s_wait_xcnt 0x0
	v_max_num_f32_e32 v24, v7, v6
	s_delay_alu instid0(VALU_DEP_1) | instskip(NEXT) | instid1(VALU_DEP_1)
	v_dual_sub_f32 v3, v3, v24 :: v_dual_sub_f32 v1, v1, v24
	v_dual_mul_f32 v6, 0x3fb8aa3b, v3 :: v_dual_mul_f32 v7, 0x3fb8aa3b, v1
	v_cmp_ngt_f32_e32 vcc_lo, 0xc2ce8ed0, v1
	s_wait_dscnt 0x0
	v_max_num_f32_e32 v5, v5, v5
	s_delay_alu instid0(VALU_DEP_3) | instskip(NEXT) | instid1(VALU_DEP_2)
	v_fma_f32 v10, 0x3fb8aa3b, v3, -v6
	v_max_num_f32_e32 v4, v4, v5
	s_delay_alu instid0(VALU_DEP_2) | instskip(SKIP_2) | instid1(VALU_DEP_1)
	v_fmac_f32_e32 v10, 0x32a5705f, v3
	ds_bpermute_b32 v5, v11, v4
	v_rndne_f32_e32 v11, v6
	v_sub_f32_e32 v6, v6, v11
	v_cvt_i32_f32_e32 v11, v11
	s_delay_alu instid0(VALU_DEP_2) | instskip(NEXT) | instid1(VALU_DEP_1)
	v_add_f32_e32 v6, v6, v10
	v_exp_f32_e32 v6, v6
	s_wait_dscnt 0x0
	v_max_num_f32_e32 v5, v5, v5
	s_delay_alu instid0(VALU_DEP_1) | instskip(SKIP_2) | instid1(VALU_DEP_3)
	v_max_num_f32_e32 v25, v4, v5
	v_fma_f32 v4, 0x3fb8aa3b, v1, -v7
	v_rndne_f32_e32 v5, v7
	v_dual_sub_f32 v0, v0, v25 :: v_dual_sub_f32 v2, v2, v25
	s_delay_alu instid0(VALU_DEP_3) | instskip(NEXT) | instid1(VALU_DEP_3)
	v_fmac_f32_e32 v4, 0x32a5705f, v1
	v_sub_f32_e32 v7, v7, v5
	v_cvt_i32_f32_e32 v5, v5
	s_delay_alu instid0(VALU_DEP_4) | instskip(NEXT) | instid1(VALU_DEP_3)
	v_mul_f32_e32 v12, 0x3fb8aa3b, v0
	v_dual_add_f32 v4, v7, v4 :: v_dual_mul_f32 v7, 0x3fb8aa3b, v2
	s_delay_alu instid0(VALU_DEP_2) | instskip(SKIP_1) | instid1(VALU_DEP_3)
	v_fma_f32 v10, 0x3fb8aa3b, v0, -v12
	v_rndne_f32_e32 v13, v12
	v_exp_f32_e32 v4, v4
	s_delay_alu instid0(VALU_DEP_3) | instskip(SKIP_1) | instid1(VALU_DEP_2)
	v_fma_f32 v14, 0x3fb8aa3b, v2, -v7
	v_rndne_f32_e32 v15, v7
	v_fmac_f32_e32 v14, 0x32a5705f, v2
	s_delay_alu instid0(TRANS32_DEP_1) | instskip(NEXT) | instid1(VALU_DEP_3)
	v_ldexp_f32 v4, v4, v5
	v_dual_sub_f32 v7, v7, v15 :: v_dual_sub_f32 v12, v12, v13
	v_ldexp_f32 v5, v6, v11
	v_cvt_i32_f32_e32 v11, v15
	s_delay_alu instid0(VALU_DEP_4) | instskip(SKIP_4) | instid1(VALU_DEP_3)
	v_cndmask_b32_e32 v4, 0, v4, vcc_lo
	v_cmp_ngt_f32_e32 vcc_lo, 0xc2ce8ed0, v3
	v_fmac_f32_e32 v10, 0x32a5705f, v0
	v_add_f32_e32 v6, v7, v14
	v_lshl_add_u64 v[14:15], s[8:9], 2, v[22:23]
	v_dual_cndmask_b32 v5, 0, v5 :: v_dual_add_f32 v10, v12, v10
	v_cmp_nlt_f32_e32 vcc_lo, 0x42b17218, v1
	s_delay_alu instid0(VALU_DEP_4) | instskip(NEXT) | instid1(VALU_DEP_2)
	v_exp_f32_e32 v6, v6
	v_exp_f32_e32 v7, v10
	v_nop
	v_cvt_i32_f32_e32 v10, v13
	s_delay_alu instid0(TRANS32_DEP_2)
	v_ldexp_f32 v1, v6, v11
	s_delay_alu instid0(TRANS32_DEP_1) | instid1(VALU_DEP_2)
	v_ldexp_f32 v7, v7, v10
	v_cndmask_b32_e32 v10, 0x7f800000, v4, vcc_lo
	v_cmp_ngt_f32_e32 vcc_lo, 0xc2ce8ed0, v0
	s_delay_alu instid0(VALU_DEP_3) | instskip(SKIP_3) | instid1(VALU_DEP_2)
	v_cndmask_b32_e32 v4, 0, v7, vcc_lo
	v_cmp_nlt_f32_e32 vcc_lo, 0x42b17218, v3
	v_cndmask_b32_e32 v12, 0x7f800000, v5, vcc_lo
	v_cmp_ngt_f32_e32 vcc_lo, 0xc2ce8ed0, v2
	v_cvt_f16_f32_e32 v3, v12
	v_cndmask_b32_e32 v1, 0, v1, vcc_lo
	v_cmp_nlt_f32_e32 vcc_lo, 0x42b17218, v0
	v_dual_cndmask_b32 v11, 0x7f800000, v4 :: v_dual_add_nc_u32 v0, v35, v27
	v_cmp_nlt_f32_e32 vcc_lo, 0x42b17218, v2
	v_and_b32_e32 v4, 0xffff, v3
	v_cndmask_b32_e32 v13, 0x7f800000, v1, vcc_lo
	s_delay_alu instid0(VALU_DEP_4) | instskip(NEXT) | instid1(VALU_DEP_3)
	v_cvt_pk_f16_f32 v1, v10, v11
	v_mul_u32_u24_e32 v70, 0x10001, v4
	ds_store_b32 v0, v1
	s_wait_loadcnt 0x0
	ds_store_b128 v36, v[46:49]
	v_cvt_f16_f32_e32 v5, v13
	s_wait_dscnt 0x0
	s_barrier_signal -1
	s_barrier_wait -1
	s_delay_alu instid0(VALU_DEP_1)
	v_and_b32_e32 v5, 0xffff, v5
	ds_load_b128 v[0:3], v35
	v_pk_mul_f16 v38, v38, v70
	v_mul_u32_u24_e32 v71, 0x10001, v5
	ds_load_b128 v[4:7], v35 offset:16
	v_pk_mul_f16 v9, v9, v71
	s_wait_dscnt 0x1
	v_and_b32_e32 v72, 0xffff, v0
	v_dual_lshrrev_b32 v0, 16, v0 :: v_dual_lshrrev_b32 v74, 16, v1
	v_lshrrev_b32_e32 v77, 16, v3
	v_and_b32_e32 v73, 0xffff, v1
	s_wait_dscnt 0x0
	v_lshrrev_b32_e32 v79, 16, v4
	v_pk_fma_f32 v[18:19], v[18:19], v[12:13], v[10:11]
	ds_load_2addr_b64 v[10:13], v44 offset1:32
	ds_load_b128 v[46:49], v35 offset:32
	ds_load_b128 v[50:53], v35 offset:48
	ds_load_2addr_b64 v[54:57], v44 offset0:64 offset1:96
	ds_load_2addr_b64 v[58:61], v44 offset0:128 offset1:160
	ds_load_2addr_b64 v[62:65], v44 offset0:192 offset1:224
	ds_load_2addr_b64 v[66:69], v45 offset1:32
	v_mul_u32_u24_e32 v1, 0x10001, v72
	v_mul_u32_u24_e32 v0, 0x10001, v0
	v_dual_lshrrev_b32 v76, 16, v2 :: v_dual_lshrrev_b32 v81, 16, v5
	v_and_b32_e32 v80, 0xffff, v4
	v_and_b32_e32 v82, 0xffff, v5
	;; [unrolled: 1-line block ×4, first 2 shown]
	v_dual_lshrrev_b32 v83, 16, v6 :: v_dual_lshrrev_b32 v85, 16, v7
	v_and_b32_e32 v84, 0xffff, v6
	v_and_b32_e32 v86, 0xffff, v7
	s_wait_dscnt 0x6
	v_pk_mul_f16 v4, v10, v1
	v_pk_mul_f16 v5, v10, v0
	v_pk_fma_f16 v10, v11, v1, v38
	v_pk_fma_f16 v9, v11, v0, v9
	v_mul_u32_u24_e32 v11, 0x10001, v73
	v_mul_u32_u24_e32 v38, 0x10001, v74
	v_pk_fma_f16 v37, v37, v70, v4
	v_pk_fma_f16 v8, v8, v71, v5
	s_wait_dscnt 0x5
	v_dual_lshrrev_b32 v87, 16, v46 :: v_dual_lshrrev_b32 v89, 16, v47
	v_and_b32_e32 v88, 0xffff, v46
	v_and_b32_e32 v90, 0xffff, v47
	v_dual_lshrrev_b32 v91, 16, v48 :: v_dual_lshrrev_b32 v93, 16, v49
	v_and_b32_e32 v92, 0xffff, v48
	v_and_b32_e32 v94, 0xffff, v49
	ds_load_2addr_b64 v[0:3], v45 offset0:64 offset1:96
	ds_load_2addr_b64 v[4:7], v45 offset0:128 offset1:160
	v_pk_fma_f16 v70, v13, v11, v10
	v_pk_fma_f16 v13, v13, v38, v9
	;; [unrolled: 1-line block ×4, first 2 shown]
	ds_load_2addr_b64 v[46:49], v45 offset0:192 offset1:224
	s_wait_dscnt 0x0
	s_barrier_signal -1
	s_barrier_wait -1
	global_load_b128 v[8:11], v[14:15], off
	s_wait_xcnt 0x0
	v_mul_u32_u24_e32 v14, 0x10001, v75
	v_mul_u32_u24_e32 v15, 0x10001, v76
	;; [unrolled: 1-line block ×5, first 2 shown]
	v_pk_fma_f16 v70, v55, v14, v70
	v_pk_fma_f16 v13, v55, v15, v13
	;; [unrolled: 1-line block ×4, first 2 shown]
	v_mul_u32_u24_e32 v74, 0x10001, v79
	v_pk_fma_f16 v15, v57, v38, v70
	v_pk_fma_f16 v13, v57, v71, v13
	v_pk_fma_f16 v14, v56, v38, v14
	v_pk_fma_f16 v12, v56, v71, v12
	v_mul_u32_u24_e32 v75, 0x10001, v82
	v_mul_u32_u24_e32 v76, 0x10001, v81
	v_pk_fma_f16 v15, v59, v73, v15
	v_pk_fma_f16 v13, v59, v74, v13
	v_pk_fma_f16 v14, v58, v73, v14
	v_pk_fma_f16 v12, v58, v74, v12
	v_mul_u32_u24_e32 v77, 0x10001, v84
	;; [unrolled: 6-line block ×6, first 2 shown]
	v_mul_u32_u24_e32 v38, 0x10001, v91
	v_pk_fma_f16 v15, v69, v83, v15
	v_pk_fma_f16 v13, v69, v84, v13
	;; [unrolled: 1-line block ×4, first 2 shown]
	v_dual_lshrrev_b32 v95, 16, v50 :: v_dual_lshrrev_b32 v96, 16, v51
	v_and_b32_e32 v50, 0xffff, v50
	v_mul_u32_u24_e32 v54, 0x10001, v94
	v_mul_u32_u24_e32 v55, 0x10001, v93
	v_pk_fma_f16 v15, v1, v37, v15
	v_pk_fma_f16 v1, v1, v38, v13
	;; [unrolled: 1-line block ×4, first 2 shown]
	v_and_b32_e32 v51, 0xffff, v51
	v_mul_u32_u24_e32 v50, 0x10001, v50
	v_mul_u32_u24_e32 v56, 0x10001, v95
	v_pk_fma_f16 v12, v3, v54, v15
	v_pk_fma_f16 v1, v3, v55, v1
	;; [unrolled: 1-line block ×4, first 2 shown]
	v_dual_lshrrev_b32 v97, 16, v52 :: v_dual_lshrrev_b32 v72, 16, v53
	v_and_b32_e32 v52, 0xffff, v52
	v_mul_u32_u24_e32 v51, 0x10001, v51
	v_mul_u32_u24_e32 v57, 0x10001, v96
	v_pk_fma_f16 v2, v5, v50, v12
	v_pk_fma_f16 v1, v5, v56, v1
	;; [unrolled: 1-line block ×4, first 2 shown]
	v_and_b32_e32 v53, 0xffff, v53
	v_mul_u32_u24_e32 v14, 0x10001, v52
	v_mul_u32_u24_e32 v13, 0x10001, v97
	v_pk_fma_f16 v2, v7, v51, v2
	v_pk_fma_f16 v1, v7, v57, v1
	;; [unrolled: 1-line block ×4, first 2 shown]
	v_mul_u32_u24_e32 v5, 0x10001, v53
	v_pk_fma_f16 v2, v47, v14, v2
	v_mul_u32_u24_e32 v4, 0x10001, v72
	v_pk_fma_f16 v1, v47, v13, v1
	v_pk_fma_f16 v3, v46, v14, v3
	;; [unrolled: 1-line block ×4, first 2 shown]
	s_delay_alu instid0(VALU_DEP_4) | instskip(NEXT) | instid1(VALU_DEP_4)
	v_pk_fma_f16 v38, v49, v4, v1
	v_pk_fma_f16 v70, v48, v5, v3
	s_delay_alu instid0(VALU_DEP_4)
	v_pk_fma_f16 v71, v48, v4, v0
	s_wait_loadcnt 0x0
	ds_store_b128 v36, v[8:11]
	s_wait_dscnt 0x0
	s_barrier_signal -1
	s_barrier_wait -1
	ds_load_b128 v[8:11], v35 offset:64
	ds_load_b128 v[12:15], v35 offset:80
	;; [unrolled: 1-line block ×4, first 2 shown]
	ds_load_2addr_b64 v[46:49], v44 offset1:32
	ds_load_2addr_b64 v[50:53], v44 offset0:64 offset1:96
	ds_load_2addr_b64 v[54:57], v44 offset0:128 offset1:160
	ds_load_2addr_b64 v[58:61], v44 offset0:192 offset1:224
	ds_load_2addr_b64 v[62:65], v45 offset1:32
	ds_load_2addr_b64 v[66:69], v45 offset0:64 offset1:96
	s_wait_dscnt 0x7
	v_dual_lshrrev_b32 v79, 16, v4 :: v_dual_lshrrev_b32 v81, 16, v5
	v_and_b32_e32 v80, 0xffff, v4
	v_and_b32_e32 v82, 0xffff, v5
	v_dual_lshrrev_b32 v83, 16, v6 :: v_dual_lshrrev_b32 v85, 16, v7
	v_dual_lshrrev_b32 v44, 16, v8 :: v_dual_lshrrev_b32 v72, 16, v9
	v_and_b32_e32 v8, 0xffff, v8
	v_and_b32_e32 v9, 0xffff, v9
	v_dual_lshrrev_b32 v73, 16, v10 :: v_dual_lshrrev_b32 v74, 16, v11
	s_delay_alu instid0(VALU_DEP_4) | instskip(NEXT) | instid1(VALU_DEP_4)
	v_mul_u32_u24_e32 v5, 0x10001, v44
	v_mul_u32_u24_e32 v4, 0x10001, v8
	v_and_b32_e32 v10, 0xffff, v10
	v_and_b32_e32 v84, 0xffff, v6
	v_and_b32_e32 v86, 0xffff, v7
	s_wait_dscnt 0x6
	v_dual_lshrrev_b32 v87, 16, v0 :: v_dual_lshrrev_b32 v89, 16, v1
	v_and_b32_e32 v88, 0xffff, v0
	v_and_b32_e32 v90, 0xffff, v1
	v_dual_lshrrev_b32 v91, 16, v2 :: v_dual_lshrrev_b32 v8, 16, v3
	v_and_b32_e32 v92, 0xffff, v2
	v_and_b32_e32 v44, 0xffff, v3
	ds_load_2addr_b64 v[0:3], v45 offset0:128 offset1:160
	s_wait_dscnt 0x6
	v_pk_fma_f16 v70, v46, v4, v70
	v_pk_fma_f16 v37, v47, v4, v37
	;; [unrolled: 1-line block ×4, first 2 shown]
	ds_load_2addr_b64 v[4:7], v45 offset0:192 offset1:224
	v_mul_u32_u24_e32 v9, 0x10001, v9
	v_mul_u32_u24_e32 v45, 0x10001, v72
	v_and_b32_e32 v11, 0xffff, v11
	v_mul_u32_u24_e32 v10, 0x10001, v10
	v_mul_u32_u24_e32 v47, 0x10001, v73
	v_pk_fma_f16 v70, v48, v9, v70
	v_pk_fma_f16 v46, v48, v45, v46
	;; [unrolled: 1-line block ×4, first 2 shown]
	v_dual_lshrrev_b32 v75, 16, v12 :: v_dual_lshrrev_b32 v76, 16, v13
	v_and_b32_e32 v12, 0xffff, v12
	v_mul_u32_u24_e32 v11, 0x10001, v11
	v_mul_u32_u24_e32 v71, 0x10001, v74
	s_wait_dscnt 0x6
	v_pk_fma_f16 v45, v50, v10, v70
	v_pk_fma_f16 v46, v50, v47, v46
	;; [unrolled: 1-line block ×4, first 2 shown]
	v_and_b32_e32 v13, 0xffff, v13
	v_mul_u32_u24_e32 v12, 0x10001, v12
	v_mul_u32_u24_e32 v72, 0x10001, v75
	v_pk_fma_f16 v45, v52, v11, v45
	v_pk_fma_f16 v46, v52, v71, v46
	;; [unrolled: 1-line block ×4, first 2 shown]
	v_dual_lshrrev_b32 v77, 16, v14 :: v_dual_lshrrev_b32 v78, 16, v15
	v_and_b32_e32 v14, 0xffff, v14
	v_mul_u32_u24_e32 v13, 0x10001, v13
	v_mul_u32_u24_e32 v73, 0x10001, v76
	s_wait_dscnt 0x5
	v_pk_fma_f16 v45, v54, v12, v45
	v_pk_fma_f16 v46, v54, v72, v46
	;; [unrolled: 1-line block ×4, first 2 shown]
	v_and_b32_e32 v15, 0xffff, v15
	v_mul_u32_u24_e32 v14, 0x10001, v14
	v_mul_u32_u24_e32 v74, 0x10001, v77
	v_pk_fma_f16 v45, v56, v13, v45
	v_pk_fma_f16 v46, v56, v73, v46
	v_pk_fma_f16 v9, v57, v13, v9
	v_pk_fma_f16 v10, v57, v73, v10
	v_mul_u32_u24_e32 v15, 0x10001, v15
	v_mul_u32_u24_e32 v75, 0x10001, v78
	s_wait_dscnt 0x4
	v_pk_fma_f16 v45, v58, v14, v45
	v_pk_fma_f16 v46, v58, v74, v46
	v_pk_fma_f16 v9, v59, v14, v9
	v_pk_fma_f16 v10, v59, v74, v10
	v_mul_u32_u24_e32 v76, 0x10001, v80
	v_mul_u32_u24_e32 v77, 0x10001, v79
	v_pk_fma_f16 v45, v60, v15, v45
	v_pk_fma_f16 v46, v60, v75, v46
	v_pk_fma_f16 v9, v61, v15, v9
	v_pk_fma_f16 v10, v61, v75, v10
	v_mul_u32_u24_e32 v78, 0x10001, v82
	v_mul_u32_u24_e32 v38, 0x10001, v81
	s_wait_dscnt 0x3
	v_pk_fma_f16 v45, v62, v76, v45
	v_pk_fma_f16 v46, v62, v77, v46
	v_pk_fma_f16 v9, v63, v76, v9
	v_pk_fma_f16 v10, v63, v77, v10
	;; [unrolled: 13-line block ×3, first 2 shown]
	s_wait_dscnt 0x0
	s_barrier_signal -1
	s_barrier_wait -1
	s_load_b32 s5, s[6:7], 0x4
	v_mul_u32_u24_e32 v14, 0x10001, v88
	v_mul_u32_u24_e32 v15, 0x10001, v87
	v_pk_fma_f16 v37, v68, v12, v45
	v_pk_fma_f16 v45, v68, v13, v46
	v_pk_fma_f16 v9, v69, v12, v9
	v_pk_fma_f16 v10, v69, v13, v10
	v_mul_u32_u24_e32 v47, 0x10001, v90
	v_mul_u32_u24_e32 v38, 0x10001, v89
	v_pk_fma_f16 v13, v0, v14, v37
	v_pk_fma_f16 v0, v0, v15, v45
	v_pk_fma_f16 v9, v1, v14, v9
	v_pk_fma_f16 v1, v1, v15, v10
	;; [unrolled: 6-line block ×4, first 2 shown]
	s_wait_kmcnt 0x0
	s_lshl_b32 s5, s5, 5
	v_pk_fma_f16 v37, v6, v10, v8
	v_pk_fma_f16 v8, v6, v3, v0
	;; [unrolled: 1-line block ×4, first 2 shown]
	s_add_co_i32 s4, s5, s4
	s_delay_alu instid0(SALU_CYCLE_1)
	s_cmp_ge_i32 s4, s28
	s_cbranch_scc1 .LBB22_23
; %bb.22:                               ;   in Loop: Header=BB22_13 Depth=1
	v_dual_mov_b32 v3, v24 :: v_dual_mov_b32 v2, v25
	s_branch .LBB22_13
.LBB22_23:
	v_mov_b32_e32 v0, v30
.LBB22_24:
	v_cmp_lt_i32_e32 vcc_lo, v43, v31
	s_cmp_lg_u64 s[12:13], 0
	s_cselect_b32 s3, -1, 0
	s_cmp_eq_u32 s20, 0
	v_cndmask_b32_e32 v1, v0, v43, vcc_lo
	v_cmp_lt_i32_e32 vcc_lo, v39, v31
	s_cselect_b32 s4, -1, 0
	s_delay_alu instid0(SALU_CYCLE_1) | instskip(NEXT) | instid1(VALU_DEP_2)
	s_and_b32 s3, s4, s3
	v_lshlrev_b32_e32 v1, 2, v1
	ds_bpermute_b32 v2, v1, v18
	ds_bpermute_b32 v3, v1, v19
	v_cndmask_b32_e32 v1, v0, v39, vcc_lo
	v_cmp_lt_i32_e32 vcc_lo, v40, v31
	s_delay_alu instid0(VALU_DEP_2)
	v_lshlrev_b32_e32 v1, 2, v1
	s_wait_dscnt 0x0
	v_pk_add_f32 v[2:3], v[18:19], v[2:3]
	ds_bpermute_b32 v4, v1, v2
	ds_bpermute_b32 v5, v1, v3
	v_cndmask_b32_e32 v1, v0, v40, vcc_lo
	v_cmp_lt_i32_e32 vcc_lo, v41, v31
	s_delay_alu instid0(VALU_DEP_2)
	v_lshlrev_b32_e32 v1, 2, v1
	s_wait_dscnt 0x0
	v_pk_add_f32 v[2:3], v[2:3], v[4:5]
	ds_bpermute_b32 v4, v1, v2
	ds_bpermute_b32 v5, v1, v3
	v_cndmask_b32_e32 v1, v0, v41, vcc_lo
	v_cmp_lt_i32_e32 vcc_lo, v42, v31
	s_delay_alu instid0(VALU_DEP_2) | instskip(SKIP_1) | instid1(VALU_DEP_1)
	v_dual_cndmask_b32 v0, v0, v42 :: v_dual_lshlrev_b32 v1, 2, v1
	s_and_b32 vcc_lo, exec_lo, s3
	v_lshlrev_b32_e32 v6, 2, v0
	s_wait_dscnt 0x0
	v_pk_add_f32 v[2:3], v[2:3], v[4:5]
	ds_bpermute_b32 v4, v1, v2
	ds_bpermute_b32 v5, v1, v3
	s_wait_dscnt 0x0
	v_pk_add_f32 v[0:1], v[2:3], v[4:5]
	ds_bpermute_b32 v2, v6, v0
	ds_bpermute_b32 v3, v6, v1
	s_wait_dscnt 0x0
	v_pk_add_f32 v[0:1], v[0:1], v[2:3]
	v_add_nc_u32_e32 v2, s33, v16
	s_cbranch_vccz .LBB22_26
; %bb.25:
	s_delay_alu instid0(VALU_DEP_1) | instskip(NEXT) | instid1(VALU_DEP_1)
	v_dual_ashrrev_i32 v3, 31, v2 :: v_dual_max_num_f32 v7, v25, v25
	v_lshl_add_u64 v[4:5], v[2:3], 2, s[12:13]
	v_max_num_f32_e32 v3, v24, v24
	global_load_b64 v[4:5], v[4:5], off
	s_wait_loadcnt 0x0
	v_dual_max_num_f32 v6, v4, v4 :: v_dual_max_num_f32 v10, v5, v5
	s_delay_alu instid0(VALU_DEP_1) | instskip(NEXT) | instid1(VALU_DEP_1)
	v_max_num_f32_e32 v6, v3, v6
	v_sub_f32_e32 v3, v24, v6
	s_delay_alu instid0(VALU_DEP_3) | instskip(SKIP_1) | instid1(VALU_DEP_3)
	v_max_num_f32_e32 v7, v7, v10
	v_sub_f32_e32 v10, v4, v6
	v_mul_f32_e32 v4, 0x3fb8aa3b, v3
	s_delay_alu instid0(VALU_DEP_3) | instskip(NEXT) | instid1(VALU_DEP_3)
	v_sub_f32_e32 v11, v25, v7
	v_dual_sub_f32 v12, v5, v7 :: v_dual_mul_f32 v5, 0x3fb8aa3b, v10
	v_cmp_ngt_f32_e32 vcc_lo, 0xc2ce8ed0, v3
	s_delay_alu instid0(VALU_DEP_4) | instskip(SKIP_1) | instid1(VALU_DEP_4)
	v_fma_f32 v15, 0x3fb8aa3b, v3, -v4
	v_rndne_f32_e32 v16, v4
	v_dual_mul_f32 v13, 0x3fb8aa3b, v11 :: v_dual_mul_f32 v14, 0x3fb8aa3b, v12
	v_fma_f32 v18, 0x3fb8aa3b, v10, -v5
	s_delay_alu instid0(VALU_DEP_3) | instskip(NEXT) | instid1(VALU_DEP_3)
	v_dual_fmac_f32 v15, 0x32a5705f, v3 :: v_dual_sub_f32 v4, v4, v16
	v_fma_f32 v20, 0x3fb8aa3b, v11, -v13
	v_rndne_f32_e32 v21, v13
	s_delay_alu instid0(VALU_DEP_4) | instskip(SKIP_2) | instid1(VALU_DEP_4)
	v_fmac_f32_e32 v18, 0x32a5705f, v10
	v_rndne_f32_e32 v19, v5
	v_fma_f32 v22, 0x3fb8aa3b, v12, -v14
	v_dual_fmac_f32 v20, 0x32a5705f, v11 :: v_dual_sub_f32 v13, v13, v21
	v_add_f32_e32 v4, v4, v15
	v_rndne_f32_e32 v23, v14
	v_cvt_i32_f32_e32 v16, v16
	v_dual_sub_f32 v5, v5, v19 :: v_dual_fmac_f32 v22, 0x32a5705f, v12
	v_add_f32_e32 v13, v13, v20
	v_exp_f32_e32 v4, v4
	s_delay_alu instid0(VALU_DEP_2) | instskip(SKIP_1) | instid1(VALU_DEP_3)
	v_dual_sub_f32 v14, v14, v23 :: v_dual_add_f32 v5, v5, v18
	v_cvt_i32_f32_e32 v18, v21
	v_exp_f32_e32 v13, v13
	v_cvt_i32_f32_e32 v15, v19
	v_cvt_i32_f32_e32 v19, v23
	s_delay_alu instid0(TRANS32_DEP_2)
	v_ldexp_f32 v4, v4, v16
	v_add_f32_e32 v14, v14, v22
	v_exp_f32_e32 v5, v5
	v_mov_b64_e32 v[24:25], v[6:7]
	v_ldexp_f32 v13, v13, v18
	v_cndmask_b32_e32 v4, 0, v4, vcc_lo
	v_cmp_ngt_f32_e32 vcc_lo, 0xc2ce8ed0, v11
	v_exp_f32_e32 v14, v14
	s_delay_alu instid0(VALU_DEP_3) | instskip(SKIP_4) | instid1(TRANS32_DEP_1)
	v_cndmask_b32_e32 v13, 0, v13, vcc_lo
	v_cmp_nlt_f32_e32 vcc_lo, 0x42b17218, v3
	v_ldexp_f32 v3, v5, v15
	v_cndmask_b32_e32 v4, 0x7f800000, v4, vcc_lo
	v_cmp_nlt_f32_e32 vcc_lo, 0x42b17218, v11
	v_ldexp_f32 v11, v14, v19
	v_cndmask_b32_e32 v5, 0x7f800000, v13, vcc_lo
	v_cmp_ngt_f32_e32 vcc_lo, 0xc2ce8ed0, v10
	v_cvt_f16_f32_e32 v13, v4
	s_delay_alu instid0(VALU_DEP_3) | instskip(SKIP_2) | instid1(VALU_DEP_4)
	v_cvt_f16_f32_e32 v14, v5
	v_cndmask_b32_e32 v3, 0, v3, vcc_lo
	v_cmp_ngt_f32_e32 vcc_lo, 0xc2ce8ed0, v12
	v_and_b32_e32 v13, 0xffff, v13
	v_cndmask_b32_e32 v11, 0, v11, vcc_lo
	v_cmp_nlt_f32_e32 vcc_lo, 0x42b17218, v10
	v_cndmask_b32_e32 v10, 0x7f800000, v3, vcc_lo
	v_and_b32_e32 v3, 0xffff, v14
	v_cmp_nlt_f32_e32 vcc_lo, 0x42b17218, v12
	v_mul_u32_u24_e32 v12, 0x10001, v13
	s_delay_alu instid0(VALU_DEP_3) | instskip(SKIP_1) | instid1(VALU_DEP_3)
	v_mul_u32_u24_e32 v3, 0x10001, v3
	v_cndmask_b32_e32 v11, 0x7f800000, v11, vcc_lo
	v_pk_mul_f16 v37, v37, v12
	v_pk_mul_f16 v38, v38, v12
	s_delay_alu instid0(VALU_DEP_4) | instskip(NEXT) | instid1(VALU_DEP_4)
	v_pk_mul_f16 v8, v8, v3
	v_pk_fma_f32 v[0:1], v[0:1], v[4:5], v[10:11]
	v_pk_mul_f16 v9, v9, v3
.LBB22_26:
	s_mov_b32 s3, exec_lo
	v_cmpx_gt_i32_e64 s22, v26
	s_cbranch_execz .LBB22_35
; %bb.27:
	s_load_b32 s0, s[0:1], 0xd4
	v_mov_b32_e32 v4, 1.0
	s_wait_kmcnt 0x0
	s_cmp_lg_u32 s0, 1
	s_cselect_b32 s3, -1, 0
	s_cmp_eq_u32 s0, 1
	s_cselect_b32 s1, -1, 0
	s_and_b32 vcc_lo, exec_lo, s3
	s_cbranch_vccnz .LBB22_29
; %bb.28:
	v_div_scale_f32 v3, null, v0, v0, 1.0
	s_delay_alu instid0(VALU_DEP_1) | instskip(SKIP_1) | instid1(TRANS32_DEP_1)
	v_rcp_f32_e32 v4, v3
	v_nop
	v_fma_f32 v5, -v3, v4, 1.0
	s_delay_alu instid0(VALU_DEP_1) | instskip(SKIP_1) | instid1(VALU_DEP_1)
	v_fmac_f32_e32 v4, v5, v4
	v_div_scale_f32 v5, vcc_lo, 1.0, v0, 1.0
	v_mul_f32_e32 v6, v5, v4
	s_delay_alu instid0(VALU_DEP_1) | instskip(NEXT) | instid1(VALU_DEP_1)
	v_fma_f32 v7, -v3, v6, v5
	v_fmac_f32_e32 v6, v7, v4
	s_delay_alu instid0(VALU_DEP_1) | instskip(NEXT) | instid1(VALU_DEP_1)
	v_fma_f32 v3, -v3, v6, v5
	v_div_fmas_f32 v3, v3, v4, v6
	s_delay_alu instid0(VALU_DEP_1)
	v_div_fixup_f32 v4, v3, v0, 1.0
.LBB22_29:
	v_mad_u32 v3, s2, s22, v26
	v_lshrrev_b32_e32 v5, 16, v38
	v_cvt_f32_f16_e32 v10, v37
	v_cvt_f32_f16_e32 v12, v38
	v_cmp_eq_u32_e32 vcc_lo, 0, v17
	v_mov_b32_e32 v7, 0
	v_cvt_f32_f16_e32 v13, v5
	s_and_b32 s2, vcc_lo, s3
	v_mad_u32 v2, v3, s23, v2
	v_lshrrev_b32_e32 v3, 16, v37
	s_delay_alu instid0(VALU_DEP_3) | instskip(NEXT) | instid1(VALU_DEP_2)
	v_pk_mul_f32 v[12:13], v[4:5], v[12:13] op_sel_hi:[0,1]
	v_cvt_f32_f16_e32 v11, v3
	s_delay_alu instid0(VALU_DEP_1) | instskip(SKIP_1) | instid1(VALU_DEP_1)
	v_pk_mul_f32 v[10:11], v[4:5], v[10:11] op_sel_hi:[0,1]
	v_mad_u32 v2, s0, v2, s20
	v_lshl_add_u32 v6, v2, 7, v27
	s_delay_alu instid0(VALU_DEP_1)
	v_lshl_add_u64 v[6:7], v[6:7], 2, s[16:17]
	global_store_b128 v[6:7], v[10:13], off
	s_wait_xcnt 0x0
	s_and_saveexec_b32 s3, s2
	s_cbranch_execz .LBB22_31
; %bb.30:
	v_dual_mov_b32 v4, v24 :: v_dual_mov_b32 v5, v0
	global_store_b64 v2, v[4:5], s[18:19] scale_offset
.LBB22_31:
	s_wait_xcnt 0x0
	s_or_b32 exec_lo, exec_lo, s3
	v_mov_b32_e32 v0, 1.0
	s_and_not1_b32 vcc_lo, exec_lo, s1
	s_cbranch_vccnz .LBB22_33
; %bb.32:
	v_div_scale_f32 v0, null, v1, v1, 1.0
	s_delay_alu instid0(VALU_DEP_1) | instskip(SKIP_1) | instid1(TRANS32_DEP_1)
	v_rcp_f32_e32 v3, v0
	v_nop
	v_fma_f32 v4, -v0, v3, 1.0
	s_delay_alu instid0(VALU_DEP_1) | instskip(SKIP_1) | instid1(VALU_DEP_1)
	v_fmac_f32_e32 v3, v4, v3
	v_div_scale_f32 v4, vcc_lo, 1.0, v1, 1.0
	v_mul_f32_e32 v5, v4, v3
	s_delay_alu instid0(VALU_DEP_1) | instskip(NEXT) | instid1(VALU_DEP_1)
	v_fma_f32 v6, -v0, v5, v4
	v_fmac_f32_e32 v5, v6, v3
	s_delay_alu instid0(VALU_DEP_1) | instskip(NEXT) | instid1(VALU_DEP_1)
	v_fma_f32 v0, -v0, v5, v4
	v_div_fmas_f32 v0, v0, v3, v5
	s_delay_alu instid0(VALU_DEP_1)
	v_div_fixup_f32 v0, v0, v1, 1.0
.LBB22_33:
	v_dual_add_nc_u32 v2, s0, v2 :: v_dual_lshrrev_b32 v3, 16, v8
	v_dual_mov_b32 v5, 0 :: v_dual_lshrrev_b32 v10, 16, v9
	v_cvt_f32_f16_e32 v6, v8
	s_delay_alu instid0(VALU_DEP_3) | instskip(NEXT) | instid1(VALU_DEP_4)
	v_lshl_add_u32 v4, v2, 7, v27
	v_cvt_f32_f16_e32 v7, v3
	v_cvt_f32_f16_e32 v8, v9
	;; [unrolled: 1-line block ×3, first 2 shown]
	s_delay_alu instid0(VALU_DEP_4) | instskip(NEXT) | instid1(VALU_DEP_4)
	v_lshl_add_u64 v[10:11], v[4:5], 2, s[16:17]
	v_pk_mul_f32 v[4:5], v[0:1], v[6:7] op_sel_hi:[0,1]
	s_delay_alu instid0(VALU_DEP_3)
	v_pk_mul_f32 v[6:7], v[0:1], v[8:9] op_sel_hi:[0,1]
	global_store_b128 v[10:11], v[4:7], off
	s_wait_xcnt 0x0
	s_and_b32 exec_lo, exec_lo, s2
	s_cbranch_execz .LBB22_35
; %bb.34:
	v_mov_b32_e32 v0, v25
	global_store_b64 v2, v[0:1], s[18:19] scale_offset
.LBB22_35:
	s_sendmsg sendmsg(MSG_DEALLOC_VGPRS)
	s_endpgm
	.section	.rodata,"a",@progbits
	.p2align	6, 0x0
	.amdhsa_kernel _ZL15flash_attn_tileILi192ELi128ELi2ELi8ELb1EEvPKcS1_S1_S1_S1_PKiPfP15HIP_vector_typeIfLj2EEffffjfiS5_IjLj3EEiiiiiiiiiiiliiliiiiil
		.amdhsa_group_segment_fixed_size 11776
		.amdhsa_private_segment_fixed_size 0
		.amdhsa_kernarg_size 464
		.amdhsa_user_sgpr_count 2
		.amdhsa_user_sgpr_dispatch_ptr 0
		.amdhsa_user_sgpr_queue_ptr 0
		.amdhsa_user_sgpr_kernarg_segment_ptr 1
		.amdhsa_user_sgpr_dispatch_id 0
		.amdhsa_user_sgpr_kernarg_preload_length 0
		.amdhsa_user_sgpr_kernarg_preload_offset 0
		.amdhsa_user_sgpr_private_segment_size 0
		.amdhsa_wavefront_size32 1
		.amdhsa_uses_dynamic_stack 0
		.amdhsa_enable_private_segment 0
		.amdhsa_system_sgpr_workgroup_id_x 1
		.amdhsa_system_sgpr_workgroup_id_y 1
		.amdhsa_system_sgpr_workgroup_id_z 1
		.amdhsa_system_sgpr_workgroup_info 0
		.amdhsa_system_vgpr_workitem_id 1
		.amdhsa_next_free_vgpr 98
		.amdhsa_next_free_sgpr 43
		.amdhsa_named_barrier_count 0
		.amdhsa_reserve_vcc 1
		.amdhsa_float_round_mode_32 0
		.amdhsa_float_round_mode_16_64 0
		.amdhsa_float_denorm_mode_32 3
		.amdhsa_float_denorm_mode_16_64 3
		.amdhsa_fp16_overflow 0
		.amdhsa_memory_ordered 1
		.amdhsa_forward_progress 1
		.amdhsa_inst_pref_size 65
		.amdhsa_round_robin_scheduling 0
		.amdhsa_exception_fp_ieee_invalid_op 0
		.amdhsa_exception_fp_denorm_src 0
		.amdhsa_exception_fp_ieee_div_zero 0
		.amdhsa_exception_fp_ieee_overflow 0
		.amdhsa_exception_fp_ieee_underflow 0
		.amdhsa_exception_fp_ieee_inexact 0
		.amdhsa_exception_int_div_zero 0
	.end_amdhsa_kernel
	.section	.text._ZL15flash_attn_tileILi192ELi128ELi2ELi8ELb1EEvPKcS1_S1_S1_S1_PKiPfP15HIP_vector_typeIfLj2EEffffjfiS5_IjLj3EEiiiiiiiiiiiliiliiiiil,"axG",@progbits,_ZL15flash_attn_tileILi192ELi128ELi2ELi8ELb1EEvPKcS1_S1_S1_S1_PKiPfP15HIP_vector_typeIfLj2EEffffjfiS5_IjLj3EEiiiiiiiiiiiliiliiiiil,comdat
.Lfunc_end22:
	.size	_ZL15flash_attn_tileILi192ELi128ELi2ELi8ELb1EEvPKcS1_S1_S1_S1_PKiPfP15HIP_vector_typeIfLj2EEffffjfiS5_IjLj3EEiiiiiiiiiiiliiliiiiil, .Lfunc_end22-_ZL15flash_attn_tileILi192ELi128ELi2ELi8ELb1EEvPKcS1_S1_S1_S1_PKiPfP15HIP_vector_typeIfLj2EEffffjfiS5_IjLj3EEiiiiiiiiiiiliiliiiiil
                                        ; -- End function
	.set _ZL15flash_attn_tileILi192ELi128ELi2ELi8ELb1EEvPKcS1_S1_S1_S1_PKiPfP15HIP_vector_typeIfLj2EEffffjfiS5_IjLj3EEiiiiiiiiiiiliiliiiiil.num_vgpr, 98
	.set _ZL15flash_attn_tileILi192ELi128ELi2ELi8ELb1EEvPKcS1_S1_S1_S1_PKiPfP15HIP_vector_typeIfLj2EEffffjfiS5_IjLj3EEiiiiiiiiiiiliiliiiiil.num_agpr, 0
	.set _ZL15flash_attn_tileILi192ELi128ELi2ELi8ELb1EEvPKcS1_S1_S1_S1_PKiPfP15HIP_vector_typeIfLj2EEffffjfiS5_IjLj3EEiiiiiiiiiiiliiliiiiil.numbered_sgpr, 43
	.set _ZL15flash_attn_tileILi192ELi128ELi2ELi8ELb1EEvPKcS1_S1_S1_S1_PKiPfP15HIP_vector_typeIfLj2EEffffjfiS5_IjLj3EEiiiiiiiiiiiliiliiiiil.num_named_barrier, 0
	.set _ZL15flash_attn_tileILi192ELi128ELi2ELi8ELb1EEvPKcS1_S1_S1_S1_PKiPfP15HIP_vector_typeIfLj2EEffffjfiS5_IjLj3EEiiiiiiiiiiiliiliiiiil.private_seg_size, 0
	.set _ZL15flash_attn_tileILi192ELi128ELi2ELi8ELb1EEvPKcS1_S1_S1_S1_PKiPfP15HIP_vector_typeIfLj2EEffffjfiS5_IjLj3EEiiiiiiiiiiiliiliiiiil.uses_vcc, 1
	.set _ZL15flash_attn_tileILi192ELi128ELi2ELi8ELb1EEvPKcS1_S1_S1_S1_PKiPfP15HIP_vector_typeIfLj2EEffffjfiS5_IjLj3EEiiiiiiiiiiiliiliiiiil.uses_flat_scratch, 0
	.set _ZL15flash_attn_tileILi192ELi128ELi2ELi8ELb1EEvPKcS1_S1_S1_S1_PKiPfP15HIP_vector_typeIfLj2EEffffjfiS5_IjLj3EEiiiiiiiiiiiliiliiiiil.has_dyn_sized_stack, 0
	.set _ZL15flash_attn_tileILi192ELi128ELi2ELi8ELb1EEvPKcS1_S1_S1_S1_PKiPfP15HIP_vector_typeIfLj2EEffffjfiS5_IjLj3EEiiiiiiiiiiiliiliiiiil.has_recursion, 0
	.set _ZL15flash_attn_tileILi192ELi128ELi2ELi8ELb1EEvPKcS1_S1_S1_S1_PKiPfP15HIP_vector_typeIfLj2EEffffjfiS5_IjLj3EEiiiiiiiiiiiliiliiiiil.has_indirect_call, 0
	.section	.AMDGPU.csdata,"",@progbits
; Kernel info:
; codeLenInByte = 8292
; TotalNumSgprs: 45
; NumVgprs: 98
; ScratchSize: 0
; MemoryBound: 0
; FloatMode: 240
; IeeeMode: 1
; LDSByteSize: 11776 bytes/workgroup (compile time only)
; SGPRBlocks: 0
; VGPRBlocks: 6
; NumSGPRsForWavesPerEU: 45
; NumVGPRsForWavesPerEU: 98
; NamedBarCnt: 0
; Occupancy: 9
; WaveLimiterHint : 1
; COMPUTE_PGM_RSRC2:SCRATCH_EN: 0
; COMPUTE_PGM_RSRC2:USER_SGPR: 2
; COMPUTE_PGM_RSRC2:TRAP_HANDLER: 0
; COMPUTE_PGM_RSRC2:TGID_X_EN: 1
; COMPUTE_PGM_RSRC2:TGID_Y_EN: 1
; COMPUTE_PGM_RSRC2:TGID_Z_EN: 1
; COMPUTE_PGM_RSRC2:TIDIG_COMP_CNT: 1
	.section	.text._ZL15flash_attn_tileILi192ELi128ELi1ELi8ELb1EEvPKcS1_S1_S1_S1_PKiPfP15HIP_vector_typeIfLj2EEffffjfiS5_IjLj3EEiiiiiiiiiiiliiliiiiil,"axG",@progbits,_ZL15flash_attn_tileILi192ELi128ELi1ELi8ELb1EEvPKcS1_S1_S1_S1_PKiPfP15HIP_vector_typeIfLj2EEffffjfiS5_IjLj3EEiiiiiiiiiiiliiliiiiil,comdat
	.globl	_ZL15flash_attn_tileILi192ELi128ELi1ELi8ELb1EEvPKcS1_S1_S1_S1_PKiPfP15HIP_vector_typeIfLj2EEffffjfiS5_IjLj3EEiiiiiiiiiiiliiliiiiil ; -- Begin function _ZL15flash_attn_tileILi192ELi128ELi1ELi8ELb1EEvPKcS1_S1_S1_S1_PKiPfP15HIP_vector_typeIfLj2EEffffjfiS5_IjLj3EEiiiiiiiiiiiliiliiiiil
	.p2align	8
	.type	_ZL15flash_attn_tileILi192ELi128ELi1ELi8ELb1EEvPKcS1_S1_S1_S1_PKiPfP15HIP_vector_typeIfLj2EEffffjfiS5_IjLj3EEiiiiiiiiiiiliiliiiiil,@function
_ZL15flash_attn_tileILi192ELi128ELi1ELi8ELb1EEvPKcS1_S1_S1_S1_PKiPfP15HIP_vector_typeIfLj2EEffffjfiS5_IjLj3EEiiiiiiiiiiiliiliiiiil: ; @_ZL15flash_attn_tileILi192ELi128ELi1ELi8ELb1EEvPKcS1_S1_S1_S1_PKiPfP15HIP_vector_typeIfLj2EEffffjfiS5_IjLj3EEiiiiiiiiiiiliiliiiiil
; %bb.0:
	s_clause 0x1
	s_load_b128 s[20:23], s[0:1], 0x5c
	s_load_b64 s[28:29], s[0:1], 0x80
	s_bfe_u32 s5, ttmp6, 0x40014
	s_lshr_b32 s4, ttmp7, 16
	s_add_co_i32 s5, s5, 1
	s_bfe_u32 s6, ttmp6, 0x40008
	s_mul_i32 s5, s4, s5
	s_getreg_b32 s24, hwreg(HW_REG_IB_STS2, 6, 4)
	s_add_co_i32 s6, s6, s5
	s_load_b64 s[36:37], s[0:1], 0xb8
	s_mov_b32 s35, 0
	s_mov_b64 s[30:31], 0
	s_wait_kmcnt 0x0
	s_ashr_i32 s2, s23, 31
	s_delay_alu instid0(SALU_CYCLE_1) | instskip(NEXT) | instid1(SALU_CYCLE_1)
	s_lshr_b32 s2, s2, 29
	s_add_co_i32 s2, s23, s2
	s_delay_alu instid0(SALU_CYCLE_1) | instskip(NEXT) | instid1(SALU_CYCLE_1)
	s_ashr_i32 s2, s2, 3
	s_cvt_f32_u32 s3, s2
	s_sub_co_i32 s7, 0, s2
	s_delay_alu instid0(SALU_CYCLE_2) | instskip(SKIP_1) | instid1(TRANS32_DEP_1)
	v_rcp_iflag_f32_e32 v1, s3
	v_nop
	v_readfirstlane_b32 s3, v1
	s_mul_f32 s3, s3, 0x4f7ffffe
	s_delay_alu instid0(SALU_CYCLE_3) | instskip(NEXT) | instid1(SALU_CYCLE_3)
	s_cvt_u32_f32 s3, s3
	s_mul_i32 s7, s7, s3
	s_delay_alu instid0(SALU_CYCLE_1) | instskip(NEXT) | instid1(SALU_CYCLE_1)
	s_mul_hi_u32 s7, s3, s7
	s_add_co_i32 s3, s3, s7
	s_cmp_eq_u32 s24, 0
	s_cselect_b32 s4, s4, s6
	s_delay_alu instid0(SALU_CYCLE_1) | instskip(NEXT) | instid1(SALU_CYCLE_1)
	s_mul_hi_u32 s3, s4, s3
	s_mul_i32 s5, s3, s2
	s_add_co_i32 s6, s3, 1
	s_sub_co_i32 s5, s4, s5
	s_delay_alu instid0(SALU_CYCLE_1)
	s_sub_co_i32 s7, s5, s2
	s_cmp_ge_u32 s5, s2
	s_cselect_b32 s3, s6, s3
	s_cselect_b32 s5, s7, s5
	s_add_co_i32 s6, s3, 1
	s_cmp_ge_u32 s5, s2
	s_cselect_b32 s2, s6, s3
	s_abs_i32 s3, s29
	s_lshl_b32 s4, s4, 3
	s_cvt_f32_u32 s5, s3
	s_sub_co_i32 s6, 0, s3
	s_mul_i32 s7, s2, s23
	s_abs_i32 s8, s23
	v_rcp_iflag_f32_e32 v1, s5
	s_sub_co_i32 s33, s4, s7
	v_nop
	s_delay_alu instid0(TRANS32_DEP_1) | instskip(SKIP_1) | instid1(SALU_CYCLE_3)
	v_readfirstlane_b32 s5, v1
	s_mul_f32 s5, s5, 0x4f7ffffe
	s_cvt_u32_f32 s5, s5
	s_delay_alu instid0(SALU_CYCLE_3) | instskip(NEXT) | instid1(SALU_CYCLE_1)
	s_mul_i32 s6, s6, s5
	s_mul_hi_u32 s6, s5, s6
	s_delay_alu instid0(SALU_CYCLE_1) | instskip(NEXT) | instid1(SALU_CYCLE_1)
	s_add_co_i32 s5, s5, s6
	s_mul_hi_u32 s4, s8, s5
	s_xor_b32 s5, s23, s29
	s_mul_i32 s6, s4, s3
	s_ashr_i32 s25, s5, 31
	s_sub_co_i32 s5, s8, s6
	s_add_co_i32 s6, s4, 1
	s_sub_co_i32 s7, s5, s3
	s_cmp_ge_u32 s5, s3
	s_cselect_b32 s4, s6, s4
	s_cselect_b32 s5, s7, s5
	s_add_co_i32 s6, s4, 1
	s_cmp_ge_u32 s5, s3
	s_cselect_b32 s3, s6, s4
	s_load_b512 s[4:19], s[0:1], 0x0
	s_xor_b32 s3, s3, s25
	s_delay_alu instid0(SALU_CYCLE_1) | instskip(NEXT) | instid1(SALU_CYCLE_1)
	s_sub_co_i32 s3, s3, s25
	s_abs_i32 s38, s3
	s_delay_alu instid0(SALU_CYCLE_1) | instskip(NEXT) | instid1(SALU_CYCLE_3)
	s_cvt_f32_u32 s25, s38
	v_rcp_iflag_f32_e32 v1, s25
	v_nop
	s_delay_alu instid0(TRANS32_DEP_1)
	v_readfirstlane_b32 s25, v1
	s_wait_kmcnt 0x0
	s_cmp_eq_u64 s[10:11], 0
	s_cbranch_scc1 .LBB23_2
; %bb.1:
	s_abs_i32 s29, s36
	s_abs_i32 s30, s2
	s_cvt_f32_u32 s26, s29
	s_sub_co_i32 s27, 0, s29
	s_delay_alu instid0(SALU_CYCLE_2) | instskip(SKIP_1) | instid1(TRANS32_DEP_1)
	v_rcp_iflag_f32_e32 v1, s26
	v_nop
	v_readfirstlane_b32 s26, v1
	s_mul_f32 s26, s26, 0x4f7ffffe
	s_delay_alu instid0(SALU_CYCLE_3) | instskip(NEXT) | instid1(SALU_CYCLE_3)
	s_cvt_u32_f32 s26, s26
	s_mul_i32 s27, s27, s26
	s_delay_alu instid0(SALU_CYCLE_1) | instskip(NEXT) | instid1(SALU_CYCLE_1)
	s_mul_hi_u32 s27, s26, s27
	s_add_co_i32 s26, s26, s27
	s_delay_alu instid0(SALU_CYCLE_1) | instskip(SKIP_2) | instid1(SALU_CYCLE_1)
	s_mul_hi_u32 s31, s30, s26
	s_load_b64 s[26:27], s[0:1], 0xc8
	s_mul_i32 s31, s31, s29
	s_sub_co_i32 s30, s30, s31
	s_ashr_i32 s31, s2, 31
	s_sub_co_i32 s34, s30, s29
	s_cmp_ge_u32 s30, s29
	s_cselect_b32 s30, s34, s30
	s_delay_alu instid0(SALU_CYCLE_1) | instskip(SKIP_2) | instid1(SALU_CYCLE_1)
	s_sub_co_i32 s34, s30, s29
	s_cmp_ge_u32 s30, s29
	s_cselect_b32 s29, s34, s30
	s_xor_b32 s29, s29, s31
	s_delay_alu instid0(SALU_CYCLE_1) | instskip(NEXT) | instid1(SALU_CYCLE_1)
	s_sub_co_i32 s30, s29, s31
	s_ashr_i32 s31, s30, 31
	s_wait_kmcnt 0x0
	s_mul_u64 s[26:27], s[26:27], s[30:31]
	s_delay_alu instid0(SALU_CYCLE_1)
	s_add_nc_u64 s[30:31], s[10:11], s[26:27]
.LBB23_2:
	s_bfe_u32 s10, ttmp6, 0x4000c
	v_dual_lshrrev_b32 v1, 10, v0 :: v_dual_mov_b32 v3, 0
	s_add_co_i32 s10, s10, 1
	s_and_b32 s11, ttmp6, 15
	s_mul_i32 s10, ttmp9, s10
	s_delay_alu instid0(VALU_DEP_1)
	v_bfe_u32 v1, v1, 2, 8
	s_add_co_i32 s11, s11, s10
	s_cmp_eq_u32 s24, 0
	v_bfe_u32 v6, v0, 10, 10
	s_cselect_b32 s26, ttmp9, s11
	s_load_b96 s[40:42], s[0:1], 0x70
	v_dual_mov_b32 v29, v3 :: v_dual_add_nc_u32 v46, s26, v1
	s_delay_alu instid0(VALU_DEP_2) | instskip(NEXT) | instid1(VALU_DEP_2)
	v_lshlrev_b32_e32 v7, 1, v6
	v_mul_hi_u32 v1, s20, v46
	s_delay_alu instid0(VALU_DEP_1) | instskip(SKIP_3) | instid1(VALU_DEP_1)
	v_dual_add_nc_u32 v1, v46, v1 :: v_dual_bitop2_b32 v28, 6, v7 bitop3:0x40
	s_wait_kmcnt 0x0
	s_mul_i32 s20, s33, s41
	s_ashr_i32 s11, s41, 31
	v_lshrrev_b32_e32 v1, s21, v1
	s_mov_b32 s10, s41
	s_ashr_i32 s41, s40, 31
	s_lshr_b64 s[10:11], s[10:11], 2
	s_lshr_b64 s[40:41], s[40:41], 2
	v_mul_lo_u32 v1, v1, s22
	s_ashr_i32 s21, s20, 31
	v_mul_u64_e32 v[8:9], s[10:11], v[28:29]
	v_and_b32_e32 v29, 0x3ff, v0
	s_delay_alu instid0(VALU_DEP_1) | instskip(SKIP_2) | instid1(VALU_DEP_1)
	v_lshlrev_b32_e32 v0, 4, v29
	v_cmp_gt_u32_e32 vcc_lo, 16, v29
	v_dual_mov_b32 v1, v3 :: v_dual_sub_nc_u32 v2, v46, v1
	v_mul_u64_e32 v[4:5], s[40:41], v[2:3]
	s_mul_i32 s40, s2, s42
	s_delay_alu instid0(SALU_CYCLE_1) | instskip(NEXT) | instid1(SALU_CYCLE_1)
	s_ashr_i32 s41, s40, 31
	s_add_nc_u64 s[4:5], s[4:5], s[40:41]
	s_delay_alu instid0(SALU_CYCLE_1)
	s_add_nc_u64 s[4:5], s[4:5], s[20:21]
	s_delay_alu instid0(VALU_DEP_1) | instid1(SALU_CYCLE_1)
	v_lshl_add_u64 v[4:5], v[4:5], 2, s[4:5]
	s_load_b32 s4, s[0:1], 0x40
	s_delay_alu instid0(VALU_DEP_1) | instskip(NEXT) | instid1(VALU_DEP_1)
	v_add_nc_u64_e32 v[0:1], v[4:5], v[0:1]
	v_lshl_add_u64 v[4:5], v[8:9], 2, v[0:1]
	global_load_b128 v[8:11], v[4:5], off
	s_wait_kmcnt 0x0
	s_mov_b32 s5, s4
	s_wait_loadcnt 0x0
	v_fma_mixlo_f16 v12, s4, v8, 0
	v_mov_b32_e32 v8, v11
	v_fma_mixlo_f16 v10, s4, v10, 0
	s_delay_alu instid0(VALU_DEP_3) | instskip(NEXT) | instid1(VALU_DEP_3)
	v_and_b32_e32 v11, 0xffff, v12
	v_pk_mul_f32 v[8:9], s[4:5], v[8:9] op_sel_hi:[0,1]
	s_delay_alu instid0(VALU_DEP_3) | instskip(NEXT) | instid1(VALU_DEP_2)
	v_and_b32_e32 v10, 0xffff, v10
	v_cvt_pk_f16_f32 v8, v8, v9
	s_delay_alu instid0(VALU_DEP_1) | instskip(SKIP_1) | instid1(VALU_DEP_2)
	v_dual_lshlrev_b32 v48, 3, v29 :: v_dual_lshlrev_b32 v13, 16, v8
	v_and_b32_e32 v12, 0xffff0000, v8
	v_add_nc_u32_e32 v9, 0x1200, v48
	v_mul_u32_u24_e32 v8, 0x300, v6
	s_delay_alu instid0(VALU_DEP_3) | instskip(NEXT) | instid1(VALU_DEP_3)
	v_or_b32_e32 v12, v12, v11
	v_mad_u32_u24 v14, 0x300, v6, v9
	v_or3_b32 v11, v13, v10, 0
	s_delay_alu instid0(VALU_DEP_3)
	v_or3_b32 v10, 0, 0, v12
	ds_store_b64 v14, v[10:11]
	s_and_saveexec_b32 s20, vcc_lo
	s_cbranch_execz .LBB23_4
; %bb.3:
	global_load_b128 v[10:13], v[4:5], off offset:512
	s_wait_xcnt 0x0
	v_mov_b64_e32 v[4:5], s[4:5]
	s_wait_loadcnt 0x0
	v_fma_mixlo_f16 v14, s4, v10, 0
	v_mov_b32_e32 v10, v13
	s_delay_alu instid0(VALU_DEP_1) | instskip(NEXT) | instid1(VALU_DEP_3)
	v_pk_mul_f32 v[4:5], v[4:5], v[10:11]
	v_and_b32_e32 v10, 0xffff, v14
	s_delay_alu instid0(VALU_DEP_2) | instskip(SKIP_1) | instid1(VALU_DEP_2)
	v_cvt_pk_f16_f32 v4, v4, v5
	v_fma_mixlo_f16 v5, s4, v12, 0
	v_and_b32_e32 v11, 0xffff0000, v4
	s_delay_alu instid0(VALU_DEP_2) | instskip(NEXT) | instid1(VALU_DEP_2)
	v_and_b32_e32 v5, 0xffff, v5
	v_dual_lshlrev_b32 v4, 16, v4 :: v_dual_bitop2_b32 v10, v11, v10 bitop3:0x54
	s_delay_alu instid0(VALU_DEP_1) | instskip(NEXT) | instid1(VALU_DEP_2)
	v_or3_b32 v5, v4, v5, 0
	v_or3_b32 v4, 0, 0, v10
	v_add_nc_u32_e32 v10, v9, v8
	ds_store_b64 v10, v[4:5] offset:256
.LBB23_4:
	s_or_b32 exec_lo, exec_lo, s20
	v_bitop3_b32 v4, v7, 7, 1 bitop3:0xc8
	v_mov_b32_e32 v5, v3
	s_delay_alu instid0(VALU_DEP_1) | instskip(NEXT) | instid1(VALU_DEP_1)
	v_mul_u64_e32 v[4:5], s[10:11], v[4:5]
	v_lshl_add_u64 v[0:1], v[4:5], 2, v[0:1]
	v_mov_b64_e32 v[4:5], s[4:5]
	global_load_b128 v[10:13], v[0:1], off
	s_wait_loadcnt 0x0
	v_fma_mixlo_f16 v3, s4, v10, 0
	v_mov_b32_e32 v10, v13
	s_delay_alu instid0(VALU_DEP_1) | instskip(NEXT) | instid1(VALU_DEP_3)
	v_pk_mul_f32 v[4:5], v[4:5], v[10:11]
	v_and_b32_e32 v10, 0xffff, v3
	s_delay_alu instid0(VALU_DEP_2) | instskip(SKIP_2) | instid1(VALU_DEP_3)
	v_cvt_pk_f16_f32 v4, v4, v5
	v_fma_mixlo_f16 v5, s4, v12, 0
	v_or_b32_e32 v3, 1, v7
	v_and_b32_e32 v11, 0xffff0000, v4
	s_delay_alu instid0(VALU_DEP_3) | instskip(NEXT) | instid1(VALU_DEP_2)
	v_and_b32_e32 v5, 0xffff, v5
	v_dual_lshlrev_b32 v4, 16, v4 :: v_dual_bitop2_b32 v10, v11, v10 bitop3:0x54
	s_delay_alu instid0(VALU_DEP_4) | instskip(NEXT) | instid1(VALU_DEP_2)
	v_mad_u32_u24 v11, 0x180, v3, v9
	v_or3_b32 v5, v4, v5, 0
	s_delay_alu instid0(VALU_DEP_3)
	v_or3_b32 v4, 0, 0, v10
	ds_store_b64 v11, v[4:5]
	s_and_saveexec_b32 s10, vcc_lo
	s_cbranch_execz .LBB23_6
; %bb.5:
	global_load_b128 v[10:13], v[0:1], off offset:512
	s_wait_xcnt 0x0
	v_mov_b64_e32 v[0:1], s[4:5]
	v_mul_u32_u24_e32 v3, 0x180, v3
	s_delay_alu instid0(VALU_DEP_1) | instskip(SKIP_3) | instid1(VALU_DEP_2)
	v_add_nc_u32_e32 v3, v9, v3
	s_wait_loadcnt 0x0
	v_fma_mixlo_f16 v4, s4, v10, 0
	v_mov_b32_e32 v10, v13
	v_and_b32_e32 v4, 0xffff, v4
	s_delay_alu instid0(VALU_DEP_2) | instskip(NEXT) | instid1(VALU_DEP_1)
	v_pk_mul_f32 v[0:1], v[0:1], v[10:11]
	v_cvt_pk_f16_f32 v0, v0, v1
	v_fma_mixlo_f16 v1, s4, v12, 0
	s_delay_alu instid0(VALU_DEP_2) | instskip(NEXT) | instid1(VALU_DEP_2)
	v_and_b32_e32 v5, 0xffff0000, v0
	v_and_b32_e32 v1, 0xffff, v1
	v_lshlrev_b32_e32 v0, 16, v0
	s_delay_alu instid0(VALU_DEP_3) | instskip(NEXT) | instid1(VALU_DEP_2)
	v_or_b32_e32 v4, v5, v4
	v_or3_b32 v1, v0, v1, 0
	s_delay_alu instid0(VALU_DEP_2)
	v_or3_b32 v0, 0, 0, v4
	ds_store_b64 v3, v[0:1] offset:256
.LBB23_6:
	s_or_b32 exec_lo, exec_lo, s10
	s_cmp_eq_u64 s[14:15], 0
	s_wait_dscnt 0x0
	s_barrier_signal -1
	s_barrier_wait -1
	s_cbranch_scc1 .LBB23_8
; %bb.7:
	s_load_b32 s4, s[0:1], 0xd0
	s_wait_kmcnt 0x0
	s_mul_i32 s4, s4, s2
	s_delay_alu instid0(SALU_CYCLE_1)
	s_add_co_i32 s4, s4, s26
	s_load_b32 s28, s[14:15], s4 offset:0x0 scale_offset
.LBB23_8:
	s_wait_xcnt 0x0
	s_bfe_u32 s4, ttmp6, 0x40010
	s_and_b32 s5, ttmp7, 0xffff
	s_add_co_i32 s4, s4, 1
	s_bfe_u32 s10, ttmp6, 0x40004
	s_mul_i32 s4, s5, s4
	v_mbcnt_lo_u32_b32 v49, -1, 0
	s_add_co_i32 s10, s10, s4
	s_cmp_eq_u32 s24, 0
	s_cselect_b32 s29, s5, s10
	s_mov_b32 s5, 0
	s_lshl_b32 s4, s29, 5
	s_wait_kmcnt 0x0
	s_cmp_lt_i32 s4, s28
	s_cbranch_scc1 .LBB23_11
; %bb.9:
	v_mbcnt_lo_u32_b32 v0, -1, 0
	s_delay_alu instid0(VALU_DEP_1)
	v_dual_mov_b32 v50, 32 :: v_dual_bitop2_b32 v63, 16, v0 bitop3:0x14
	v_xor_b32_e32 v59, 8, v0
	v_xor_b32_e32 v60, 4, v0
	;; [unrolled: 1-line block ×3, first 2 shown]
	v_dual_lshlrev_b32 v47, 2, v29 :: v_dual_bitop2_b32 v62, 1, v0 bitop3:0x14
	s_and_not1_b32 vcc_lo, exec_lo, s5
	s_cbranch_vccz .LBB23_12
; %bb.10:
	v_dual_mov_b32 v31, 0 :: v_dual_mov_b32 v14, 0
	v_dual_mov_b32 v45, 0xfeffffff :: v_dual_mov_b32 v44, 0xfeffffff
	s_delay_alu instid0(VALU_DEP_2)
	v_dual_mov_b32 v15, 0 :: v_dual_mov_b32 v30, v31
	v_dual_mov_b32 v12, 0 :: v_dual_mov_b32 v13, 0
	s_branch .LBB23_24
.LBB23_11:
                                        ; implicit-def: $vgpr0
                                        ; implicit-def: $vgpr50
                                        ; implicit-def: $vgpr63
                                        ; implicit-def: $vgpr59
                                        ; implicit-def: $vgpr60
                                        ; implicit-def: $vgpr61
                                        ; implicit-def: $vgpr62
	v_lshlrev_b32_e32 v47, 2, v29
.LBB23_12:
	s_mul_f32 s5, s25, 0x4f7ffffe
	s_clause 0x1
	s_load_b128 s[24:27], s[0:1], 0x98
	s_load_b64 s[14:15], s[0:1], 0x8c
	s_sub_co_i32 s10, 0, s38
	s_ashr_i32 s39, s3, 31
	s_cvt_u32_f32 s5, s5
	v_dual_lshrrev_b32 v0, 3, v29 :: v_dual_lshrrev_b32 v3, 4, v29
	s_abs_i32 s34, s33
	s_delay_alu instid0(SALU_CYCLE_1)
	s_mul_i32 s10, s10, s5
	s_mov_b32 s11, s35
	s_mul_hi_u32 s3, s5, s10
	v_lshl_add_u32 v1, v6, 2, v0
	s_add_co_i32 s10, s5, s3
	v_dual_mov_b32 v37, 0 :: v_dual_bitop2_b32 v0, 28, v47 bitop3:0x40
	s_mul_u64 s[10:11], s[34:35], s[10:11]
	v_add_nc_u32_e32 v3, v3, v7
	s_mul_i32 s5, s11, s38
	s_ashr_i32 s36, s33, 31
	s_sub_co_i32 s5, s34, s5
	s_wait_kmcnt 0x0
	s_ashr_i32 s10, s26, 2
	s_ashr_i32 s37, s37, 1
	;; [unrolled: 1-line block ×3, first 2 shown]
	s_xor_b32 s35, s36, s39
	s_ashr_i32 s14, s14, 2
	s_add_co_i32 s26, s11, 1
	s_sub_co_i32 s34, s5, s38
	v_lshlrev_b32_e32 v5, 2, v0
	v_mul_lo_u32 v10, s10, v3
	s_cmp_ge_u32 s5, s38
	s_load_b64 s[20:21], s[0:1], 0xa8
	v_mul_lo_u32 v32, s14, v1
	s_cselect_b32 s11, s26, s11
	s_cselect_b32 s5, s34, s5
	s_add_co_i32 s26, s11, 1
	s_cmp_ge_u32 s5, s38
	v_and_b32_e32 v4, 60, v47
	s_cselect_b32 s5, s26, s11
	s_load_b32 s26, s[0:1], 0x54
	v_lshl_add_u32 v12, s10, 3, v10
	v_mad_u32_u24 v51, 0x90, v1, v5
	v_ashrrev_i32_e32 v11, 31, v10
	v_lshl_add_u32 v34, s14, 4, v32
	v_ashrrev_i32_e32 v33, 31, v32
	v_lshlrev_b32_e32 v1, 2, v4
	v_ashrrev_i32_e32 v13, 31, v12
	v_mad_u32 v56, v2, s37, v29
	s_xor_b32 s5, s5, s35
	v_ashrrev_i32_e32 v35, 31, v34
	v_lshl_or_b32 v55, v3, 8, v1
	s_sub_co_i32 s5, s5, s35
	s_mul_u64 s[24:25], s[24:25], s[2:3]
	v_lshlrev_b64_e32 v[40:41], 2, v[10:11]
	v_lshlrev_b64_e32 v[42:43], 2, v[12:13]
	s_mul_i32 s34, s5, s15
	s_add_nc_u64 s[6:7], s[6:7], s[24:25]
	s_wait_kmcnt 0x0
	s_mul_u64 s[20:21], s[20:21], s[2:3]
	s_mul_i32 s24, s5, s27
	v_dual_mov_b32 v39, v37 :: v_dual_add_nc_u32 v52, 0x900, v51
	v_mul_u32_u24_e32 v53, 0x90, v29
	v_dual_mov_b32 v13, v37 :: v_dual_add_nc_u32 v54, 0x1200, v8
	v_lshl_add_u32 v57, v6, 7, 0x1e00
	v_dual_mov_b32 v15, v37 :: v_dual_add_nc_u32 v58, 0x800, v55
	v_dual_mov_b32 v9, 0xfeffffff :: v_dual_lshlrev_b32 v38, 2, v0
	v_dual_mov_b32 v50, 32 :: v_dual_lshlrev_b32 v36, 2, v4
	v_dual_mov_b32 v12, v37 :: v_dual_mov_b32 v14, v37
	v_dual_mov_b32 v8, 0xfeffffff :: v_dual_mov_b32 v31, v37
	v_mov_b32_e32 v30, v37
	s_ashr_i32 s35, s34, 31
	s_add_nc_u64 s[8:9], s[8:9], s[20:21]
	s_ashr_i32 s25, s24, 31
	s_add_nc_u64 s[6:7], s[6:7], s[34:35]
	s_add_nc_u64 s[8:9], s[8:9], s[24:25]
	s_ashr_i32 s15, s14, 31
	s_ashr_i32 s11, s10, 31
	s_add_nc_u64 s[20:21], s[0:1], 0xd0
	s_mov_b32 s3, 0xbbbac73d
.LBB23_13:                              ; =>This Inner Loop Header: Depth=1
	s_ashr_i32 s5, s4, 31
	v_mov_b32_e32 v24, 0
	s_mul_u64 s[24:25], s[4:5], s[14:15]
	s_delay_alu instid0(SALU_CYCLE_1) | instskip(NEXT) | instid1(SALU_CYCLE_1)
	s_lshl_b64 s[24:25], s[24:25], 2
	s_add_nc_u64 s[24:25], s[6:7], s[24:25]
	s_delay_alu instid0(SALU_CYCLE_1) | instskip(SKIP_1) | instid1(VALU_DEP_2)
	v_lshl_add_u64 v[0:1], v[32:33], 2, s[24:25]
	v_lshl_add_u64 v[2:3], v[34:35], 2, s[24:25]
	v_add_nc_u64_e32 v[0:1], v[0:1], v[38:39]
	s_delay_alu instid0(VALU_DEP_2)
	v_add_nc_u64_e32 v[2:3], v[2:3], v[38:39]
	s_clause 0x1
	global_load_b128 v[4:7], v[0:1], off
	global_load_b128 v[16:19], v[2:3], off
	s_wait_loadcnt 0x1
	ds_store_b128 v51, v[4:7]
	s_wait_loadcnt 0x0
	ds_store_b128 v52, v[16:19]
	s_wait_dscnt 0x0
	s_barrier_signal -1
	s_barrier_wait -1
	ds_load_b128 v[16:19], v53
	ds_load_b128 v[20:23], v54
	ds_load_b128 v[60:63], v54 offset:384
	v_dual_mov_b32 v4, 0 :: v_dual_add_nc_u32 v5, s4, v56
	s_wait_dscnt 0x1
	;;#ASMSTART
	v_dot2_f32_f16 v4, v16, v20, v4
	;;#ASMEND
	;;#ASMSTART
	v_dot2_f32_f16 v4, v17, v21, v4
	;;#ASMEND
	;;#ASMSTART
	v_dot2_f32_f16 v4, v18, v22, v4
	;;#ASMEND
	;;#ASMSTART
	v_dot2_f32_f16 v4, v19, v23, v4
	;;#ASMEND
	s_wait_dscnt 0x0
	;;#ASMSTART
	v_dot2_f32_f16 v24, v16, v60, v24
	;;#ASMEND
	;;#ASMSTART
	v_dot2_f32_f16 v24, v17, v61, v24
	;;#ASMEND
	;;#ASMSTART
	v_dot2_f32_f16 v24, v18, v62, v24
	;;#ASMEND
	;;#ASMSTART
	v_dot2_f32_f16 v24, v19, v63, v24
	;;#ASMEND
	ds_load_b128 v[16:19], v53 offset:16
	ds_load_b128 v[20:23], v54 offset:16
	ds_load_b128 v[60:63], v54 offset:400
	s_wait_dscnt 0x1
	;;#ASMSTART
	v_dot2_f32_f16 v4, v16, v20, v4
	;;#ASMEND
	;;#ASMSTART
	v_dot2_f32_f16 v4, v17, v21, v4
	;;#ASMEND
	;;#ASMSTART
	v_dot2_f32_f16 v4, v18, v22, v4
	;;#ASMEND
	;;#ASMSTART
	v_dot2_f32_f16 v4, v19, v23, v4
	;;#ASMEND
	s_wait_dscnt 0x0
	;;#ASMSTART
	v_dot2_f32_f16 v24, v16, v60, v24
	;;#ASMEND
	;;#ASMSTART
	v_dot2_f32_f16 v24, v17, v61, v24
	;;#ASMEND
	;;#ASMSTART
	v_dot2_f32_f16 v24, v18, v62, v24
	;;#ASMEND
	;;#ASMSTART
	v_dot2_f32_f16 v24, v19, v63, v24
	;;#ASMEND
	ds_load_b128 v[16:19], v53 offset:32
	ds_load_b128 v[20:23], v54 offset:32
	ds_load_b128 v[60:63], v54 offset:416
	s_wait_dscnt 0x1
	;;#ASMSTART
	v_dot2_f32_f16 v4, v16, v20, v4
	;;#ASMEND
	;;#ASMSTART
	v_dot2_f32_f16 v4, v17, v21, v4
	;;#ASMEND
	;;#ASMSTART
	v_dot2_f32_f16 v4, v18, v22, v4
	;;#ASMEND
	;;#ASMSTART
	v_dot2_f32_f16 v4, v19, v23, v4
	;;#ASMEND
	s_wait_dscnt 0x0
	;;#ASMSTART
	v_dot2_f32_f16 v24, v16, v60, v24
	;;#ASMEND
	;;#ASMSTART
	v_dot2_f32_f16 v24, v17, v61, v24
	;;#ASMEND
	;;#ASMSTART
	v_dot2_f32_f16 v24, v18, v62, v24
	;;#ASMEND
	;;#ASMSTART
	v_dot2_f32_f16 v24, v19, v63, v24
	;;#ASMEND
	ds_load_b128 v[16:19], v53 offset:48
	ds_load_b128 v[20:23], v54 offset:48
	ds_load_b128 v[60:63], v54 offset:432
	s_wait_dscnt 0x1
	;;#ASMSTART
	v_dot2_f32_f16 v4, v16, v20, v4
	;;#ASMEND
	;;#ASMSTART
	v_dot2_f32_f16 v4, v17, v21, v4
	;;#ASMEND
	;;#ASMSTART
	v_dot2_f32_f16 v4, v18, v22, v4
	;;#ASMEND
	;;#ASMSTART
	v_dot2_f32_f16 v4, v19, v23, v4
	;;#ASMEND
	s_wait_dscnt 0x0
	;;#ASMSTART
	v_dot2_f32_f16 v24, v16, v60, v24
	;;#ASMEND
	;;#ASMSTART
	v_dot2_f32_f16 v24, v17, v61, v24
	;;#ASMEND
	;;#ASMSTART
	v_dot2_f32_f16 v24, v18, v62, v24
	;;#ASMEND
	;;#ASMSTART
	v_dot2_f32_f16 v24, v19, v63, v24
	;;#ASMEND
	ds_load_b128 v[16:19], v53 offset:64
	ds_load_b128 v[20:23], v54 offset:64
	ds_load_b128 v[60:63], v54 offset:448
	s_wait_dscnt 0x1
	;;#ASMSTART
	v_dot2_f32_f16 v4, v16, v20, v4
	;;#ASMEND
	;;#ASMSTART
	v_dot2_f32_f16 v4, v17, v21, v4
	;;#ASMEND
	;;#ASMSTART
	v_dot2_f32_f16 v4, v18, v22, v4
	;;#ASMEND
	;;#ASMSTART
	v_dot2_f32_f16 v4, v19, v23, v4
	;;#ASMEND
	s_wait_dscnt 0x0
	;;#ASMSTART
	v_dot2_f32_f16 v24, v16, v60, v24
	;;#ASMEND
	;;#ASMSTART
	v_dot2_f32_f16 v24, v17, v61, v24
	;;#ASMEND
	;;#ASMSTART
	v_dot2_f32_f16 v24, v18, v62, v24
	;;#ASMEND
	;;#ASMSTART
	v_dot2_f32_f16 v24, v19, v63, v24
	;;#ASMEND
	ds_load_b128 v[16:19], v53 offset:80
	ds_load_b128 v[20:23], v54 offset:80
	ds_load_b128 v[60:63], v54 offset:464
	s_wait_dscnt 0x1
	;;#ASMSTART
	v_dot2_f32_f16 v4, v16, v20, v4
	;;#ASMEND
	;;#ASMSTART
	v_dot2_f32_f16 v4, v17, v21, v4
	;;#ASMEND
	;;#ASMSTART
	v_dot2_f32_f16 v4, v18, v22, v4
	;;#ASMEND
	;;#ASMSTART
	v_dot2_f32_f16 v4, v19, v23, v4
	;;#ASMEND
	s_wait_dscnt 0x0
	;;#ASMSTART
	v_dot2_f32_f16 v24, v16, v60, v24
	;;#ASMEND
	;;#ASMSTART
	v_dot2_f32_f16 v24, v17, v61, v24
	;;#ASMEND
	;;#ASMSTART
	v_dot2_f32_f16 v24, v18, v62, v24
	;;#ASMEND
	;;#ASMSTART
	v_dot2_f32_f16 v24, v19, v63, v24
	;;#ASMEND
	ds_load_b128 v[16:19], v53 offset:96
	ds_load_b128 v[20:23], v54 offset:96
	ds_load_b128 v[60:63], v54 offset:480
	s_wait_dscnt 0x1
	;;#ASMSTART
	v_dot2_f32_f16 v4, v16, v20, v4
	;;#ASMEND
	;;#ASMSTART
	v_dot2_f32_f16 v4, v17, v21, v4
	;;#ASMEND
	;;#ASMSTART
	v_dot2_f32_f16 v4, v18, v22, v4
	;;#ASMEND
	;;#ASMSTART
	v_dot2_f32_f16 v4, v19, v23, v4
	;;#ASMEND
	s_wait_dscnt 0x0
	;;#ASMSTART
	v_dot2_f32_f16 v24, v16, v60, v24
	;;#ASMEND
	;;#ASMSTART
	v_dot2_f32_f16 v24, v17, v61, v24
	;;#ASMEND
	;;#ASMSTART
	v_dot2_f32_f16 v24, v18, v62, v24
	;;#ASMEND
	;;#ASMSTART
	v_dot2_f32_f16 v24, v19, v63, v24
	;;#ASMEND
	ds_load_b128 v[16:19], v53 offset:112
	ds_load_b128 v[20:23], v54 offset:112
	ds_load_b128 v[60:63], v54 offset:496
	s_wait_dscnt 0x1
	;;#ASMSTART
	v_dot2_f32_f16 v4, v16, v20, v4
	;;#ASMEND
	;;#ASMSTART
	v_dot2_f32_f16 v4, v17, v21, v4
	;;#ASMEND
	;; [unrolled: 3-line block ×4, first 2 shown]
	s_wait_dscnt 0x0
	;;#ASMSTART
	v_dot2_f32_f16 v24, v16, v60, v24
	;;#ASMEND
	;;#ASMSTART
	v_dot2_f32_f16 v24, v17, v61, v24
	;;#ASMEND
	;; [unrolled: 3-line block ×4, first 2 shown]
	s_barrier_signal -1
	s_barrier_wait -1
	s_clause 0x1
	global_load_b128 v[16:19], v[0:1], off offset:128
	global_load_b128 v[20:23], v[2:3], off offset:128
	s_wait_loadcnt 0x1
	ds_store_b128 v51, v[16:19]
	s_wait_loadcnt 0x0
	ds_store_b128 v52, v[20:23]
	s_wait_dscnt 0x0
	s_barrier_signal -1
	s_barrier_wait -1
	ds_load_b128 v[16:19], v53
	ds_load_b128 v[20:23], v54 offset:128
	ds_load_b128 v[60:63], v54 offset:512
	s_wait_dscnt 0x1
	;;#ASMSTART
	v_dot2_f32_f16 v4, v16, v20, v4
	;;#ASMEND
	;;#ASMSTART
	v_dot2_f32_f16 v4, v17, v21, v4
	;;#ASMEND
	;;#ASMSTART
	v_dot2_f32_f16 v4, v18, v22, v4
	;;#ASMEND
	;;#ASMSTART
	v_dot2_f32_f16 v4, v19, v23, v4
	;;#ASMEND
	s_wait_dscnt 0x0
	;;#ASMSTART
	v_dot2_f32_f16 v24, v16, v60, v24
	;;#ASMEND
	;;#ASMSTART
	v_dot2_f32_f16 v24, v17, v61, v24
	;;#ASMEND
	;;#ASMSTART
	v_dot2_f32_f16 v24, v18, v62, v24
	;;#ASMEND
	;;#ASMSTART
	v_dot2_f32_f16 v24, v19, v63, v24
	;;#ASMEND
	ds_load_b128 v[16:19], v53 offset:16
	ds_load_b128 v[20:23], v54 offset:144
	ds_load_b128 v[60:63], v54 offset:528
	s_wait_dscnt 0x1
	;;#ASMSTART
	v_dot2_f32_f16 v4, v16, v20, v4
	;;#ASMEND
	;;#ASMSTART
	v_dot2_f32_f16 v4, v17, v21, v4
	;;#ASMEND
	;;#ASMSTART
	v_dot2_f32_f16 v4, v18, v22, v4
	;;#ASMEND
	;;#ASMSTART
	v_dot2_f32_f16 v4, v19, v23, v4
	;;#ASMEND
	s_wait_dscnt 0x0
	;;#ASMSTART
	v_dot2_f32_f16 v24, v16, v60, v24
	;;#ASMEND
	;;#ASMSTART
	v_dot2_f32_f16 v24, v17, v61, v24
	;;#ASMEND
	;;#ASMSTART
	v_dot2_f32_f16 v24, v18, v62, v24
	;;#ASMEND
	;;#ASMSTART
	v_dot2_f32_f16 v24, v19, v63, v24
	;;#ASMEND
	ds_load_b128 v[16:19], v53 offset:32
	;; [unrolled: 29-line block ×7, first 2 shown]
	ds_load_b128 v[20:23], v54 offset:240
	ds_load_b128 v[60:63], v54 offset:624
	s_wait_dscnt 0x1
	;;#ASMSTART
	v_dot2_f32_f16 v4, v16, v20, v4
	;;#ASMEND
	;;#ASMSTART
	v_dot2_f32_f16 v4, v17, v21, v4
	;;#ASMEND
	;;#ASMSTART
	v_dot2_f32_f16 v4, v18, v22, v4
	;;#ASMEND
	;;#ASMSTART
	v_dot2_f32_f16 v4, v19, v23, v4
	;;#ASMEND
	s_wait_dscnt 0x0
	;;#ASMSTART
	v_dot2_f32_f16 v24, v16, v60, v24
	;;#ASMEND
	;;#ASMSTART
	v_dot2_f32_f16 v24, v17, v61, v24
	;;#ASMEND
	;; [unrolled: 3-line block ×4, first 2 shown]
	s_barrier_signal -1
	s_barrier_wait -1
	s_clause 0x1
	global_load_b128 v[16:19], v[0:1], off offset:256
	global_load_b128 v[20:23], v[2:3], off offset:256
	s_wait_loadcnt 0x1
	ds_store_b128 v51, v[16:19]
	s_wait_loadcnt 0x0
	ds_store_b128 v52, v[20:23]
	s_wait_dscnt 0x0
	s_barrier_signal -1
	s_barrier_wait -1
	ds_load_b128 v[0:3], v53
	ds_load_b128 v[16:19], v54 offset:256
	ds_load_b128 v[20:23], v54 offset:640
	s_wait_dscnt 0x1
	;;#ASMSTART
	v_dot2_f32_f16 v4, v0, v16, v4
	;;#ASMEND
	;;#ASMSTART
	v_dot2_f32_f16 v4, v1, v17, v4
	;;#ASMEND
	;;#ASMSTART
	v_dot2_f32_f16 v4, v2, v18, v4
	;;#ASMEND
	;;#ASMSTART
	v_dot2_f32_f16 v4, v3, v19, v4
	;;#ASMEND
	s_wait_dscnt 0x0
	;;#ASMSTART
	v_dot2_f32_f16 v24, v0, v20, v24
	;;#ASMEND
	;;#ASMSTART
	v_dot2_f32_f16 v24, v1, v21, v24
	;;#ASMEND
	;;#ASMSTART
	v_dot2_f32_f16 v24, v2, v22, v24
	;;#ASMEND
	;;#ASMSTART
	v_dot2_f32_f16 v24, v3, v23, v24
	;;#ASMEND
	ds_load_b128 v[0:3], v53 offset:16
	ds_load_b128 v[16:19], v54 offset:272
	ds_load_b128 v[20:23], v54 offset:656
	s_wait_dscnt 0x1
	;;#ASMSTART
	v_dot2_f32_f16 v4, v0, v16, v4
	;;#ASMEND
	;;#ASMSTART
	v_dot2_f32_f16 v4, v1, v17, v4
	;;#ASMEND
	;;#ASMSTART
	v_dot2_f32_f16 v4, v2, v18, v4
	;;#ASMEND
	;;#ASMSTART
	v_dot2_f32_f16 v4, v3, v19, v4
	;;#ASMEND
	s_wait_dscnt 0x0
	;;#ASMSTART
	v_dot2_f32_f16 v24, v0, v20, v24
	;;#ASMEND
	;;#ASMSTART
	v_dot2_f32_f16 v24, v1, v21, v24
	;;#ASMEND
	;;#ASMSTART
	v_dot2_f32_f16 v24, v2, v22, v24
	;;#ASMEND
	;;#ASMSTART
	v_dot2_f32_f16 v24, v3, v23, v24
	;;#ASMEND
	ds_load_b128 v[0:3], v53 offset:32
	;; [unrolled: 29-line block ×7, first 2 shown]
	ds_load_b128 v[16:19], v54 offset:368
	ds_load_b128 v[20:23], v54 offset:752
	s_wait_dscnt 0x1
	;;#ASMSTART
	v_dot2_f32_f16 v4, v0, v16, v4
	;;#ASMEND
	;;#ASMSTART
	v_dot2_f32_f16 v4, v1, v17, v4
	;;#ASMEND
	;;#ASMSTART
	v_dot2_f32_f16 v4, v2, v18, v4
	;;#ASMEND
	;;#ASMSTART
	v_dot2_f32_f16 v4, v3, v19, v4
	;;#ASMEND
	s_wait_dscnt 0x0
	;;#ASMSTART
	v_dot2_f32_f16 v24, v0, v20, v24
	;;#ASMEND
	;;#ASMSTART
	v_dot2_f32_f16 v24, v1, v21, v24
	;;#ASMEND
	;; [unrolled: 3-line block ×4, first 2 shown]
	global_load_u16 v10, v5, s[30:31] scale_offset
	v_cmp_ngt_f32_e64 s24, 0x3f200000, |v4|
                                        ; implicit-def: $vgpr0
	s_wait_xcnt 0x0
	s_and_saveexec_b32 s25, s24
	s_delay_alu instid0(SALU_CYCLE_1)
	s_xor_b32 s24, exec_lo, s25
	s_cbranch_execz .LBB23_15
; %bb.14:                               ;   in Loop: Header=BB23_13 Depth=1
	v_add_f32_e64 v0, |v4|, |v4|
	s_delay_alu instid0(VALU_DEP_1) | instskip(SKIP_1) | instid1(VALU_DEP_2)
	v_mul_f32_e32 v1, 0x3fb8aa3b, v0
	v_cmp_ngt_f32_e32 vcc_lo, 0xc2ce8ed0, v0
	v_rndne_f32_e32 v2, v1
	v_fma_f32 v3, 0x3fb8aa3b, v0, -v1
	s_delay_alu instid0(VALU_DEP_2) | instskip(NEXT) | instid1(VALU_DEP_2)
	v_sub_f32_e32 v1, v1, v2
	v_fmac_f32_e32 v3, 0x32a5705f, v0
	v_cvt_i32_f32_e32 v2, v2
	s_delay_alu instid0(VALU_DEP_2) | instskip(NEXT) | instid1(VALU_DEP_1)
	v_add_f32_e32 v1, v1, v3
	v_exp_f32_e32 v1, v1
	v_nop
	s_delay_alu instid0(TRANS32_DEP_1) | instskip(NEXT) | instid1(VALU_DEP_1)
	v_ldexp_f32 v1, v1, v2
	v_cndmask_b32_e32 v1, 0, v1, vcc_lo
	v_cmp_nlt_f32_e32 vcc_lo, 0x42b17218, v0
	s_delay_alu instid0(VALU_DEP_2) | instskip(NEXT) | instid1(VALU_DEP_1)
	v_cndmask_b32_e32 v0, 0x7f800000, v1, vcc_lo
	v_add_f32_e32 v0, 1.0, v0
	s_delay_alu instid0(VALU_DEP_1) | instskip(SKIP_1) | instid1(TRANS32_DEP_1)
	v_rcp_f32_e32 v0, v0
	v_nop
	v_fma_f32 v0, v0, -2.0, 1.0
.LBB23_15:                              ;   in Loop: Header=BB23_13 Depth=1
	s_and_not1_saveexec_b32 s24, s24
	s_cbranch_execz .LBB23_17
; %bb.16:                               ;   in Loop: Header=BB23_13 Depth=1
	v_mul_f32_e32 v0, v4, v4
	s_delay_alu instid0(VALU_DEP_1) | instskip(NEXT) | instid1(VALU_DEP_1)
	v_fmaak_f32 v1, s3, v0, 0x3ca908c9
	v_fmaak_f32 v1, v0, v1, 0xbd5c1c4e
	s_delay_alu instid0(VALU_DEP_1) | instskip(NEXT) | instid1(VALU_DEP_1)
	v_fmaak_f32 v1, v0, v1, 0x3e088382
	v_fmaak_f32 v1, v0, v1, 0xbeaaaa99
	s_delay_alu instid0(VALU_DEP_1) | instskip(NEXT) | instid1(VALU_DEP_1)
	v_mul_f32_e64 v1, |v4|, v1
	v_fma_f32 v0, v0, v1, |v4|
.LBB23_17:                              ;   in Loop: Header=BB23_13 Depth=1
	s_or_b32 exec_lo, exec_lo, s24
	s_delay_alu instid0(VALU_DEP_1)
	v_bfi_b32 v0, 0x7fffffff, v0, v4
	v_xor_b32_e32 v63, 16, v49
	v_xor_b32_e32 v60, 4, v49
	;; [unrolled: 1-line block ×4, first 2 shown]
	s_wait_loadcnt 0x0
	v_fma_mix_f32 v11, s26, v0, v10 op_sel_hi:[0,0,1]
	v_cmp_gt_i32_e32 vcc_lo, 32, v63
	v_cmp_ngt_f32_e64 s24, 0x3f200000, |v24|
                                        ; implicit-def: $vgpr23
	v_max_num_f32_e32 v2, v9, v9
	v_xor_b32_e32 v59, 8, v49
	v_add_f32_e32 v1, 0x40051340, v11
	v_cndmask_b32_e32 v0, v49, v63, vcc_lo
	s_delay_alu instid0(VALU_DEP_3) | instskip(NEXT) | instid1(VALU_DEP_2)
	v_cmp_gt_i32_e32 vcc_lo, 32, v59
	v_dual_lshlrev_b32 v16, 2, v0 :: v_dual_max_num_f32 v0, v2, v1
	v_cndmask_b32_e32 v2, v49, v59, vcc_lo
	v_cmp_gt_i32_e32 vcc_lo, 32, v60
	ds_bpermute_b32 v1, v16, v0
	v_dual_cndmask_b32 v2, v49, v60 :: v_dual_lshlrev_b32 v17, 2, v2
	v_cmp_gt_i32_e32 vcc_lo, 32, v61
	s_delay_alu instid0(VALU_DEP_2) | instskip(SKIP_1) | instid1(VALU_DEP_2)
	v_dual_lshlrev_b32 v18, 2, v2 :: v_dual_cndmask_b32 v2, v49, v61, vcc_lo
	v_cmp_gt_i32_e32 vcc_lo, 32, v62
	v_lshlrev_b32_e32 v19, 2, v2
	v_cndmask_b32_e32 v2, v49, v62, vcc_lo
	s_wait_dscnt 0x0
	s_delay_alu instid0(VALU_DEP_1) | instskip(NEXT) | instid1(VALU_DEP_1)
	v_dual_max_num_f32 v1, v1, v1 :: v_dual_lshlrev_b32 v21, 2, v2
	v_max_num_f32_e32 v0, v0, v1
	ds_bpermute_b32 v1, v17, v0
	s_wait_dscnt 0x0
	v_max_num_f32_e32 v1, v1, v1
	s_delay_alu instid0(VALU_DEP_1) | instskip(SKIP_3) | instid1(VALU_DEP_1)
	v_max_num_f32_e32 v0, v0, v1
	ds_bpermute_b32 v1, v18, v0
	s_wait_dscnt 0x0
	v_max_num_f32_e32 v1, v1, v1
	v_max_num_f32_e32 v0, v0, v1
	ds_bpermute_b32 v1, v19, v0
	s_wait_dscnt 0x0
	v_max_num_f32_e32 v1, v1, v1
	s_delay_alu instid0(VALU_DEP_1) | instskip(SKIP_2) | instid1(SALU_CYCLE_1)
	v_max_num_f32_e32 v20, v0, v1
	ds_bpermute_b32 v22, v21, v20
	s_and_saveexec_b32 s25, s24
	s_xor_b32 s24, exec_lo, s25
	s_cbranch_execz .LBB23_19
; %bb.18:                               ;   in Loop: Header=BB23_13 Depth=1
	v_add_f32_e64 v0, |v24|, |v24|
	s_delay_alu instid0(VALU_DEP_1) | instskip(SKIP_1) | instid1(VALU_DEP_2)
	v_mul_f32_e32 v1, 0x3fb8aa3b, v0
	v_cmp_ngt_f32_e32 vcc_lo, 0xc2ce8ed0, v0
	v_rndne_f32_e32 v2, v1
	v_fma_f32 v3, 0x3fb8aa3b, v0, -v1
	s_delay_alu instid0(VALU_DEP_2) | instskip(NEXT) | instid1(VALU_DEP_2)
	v_sub_f32_e32 v1, v1, v2
	v_fmac_f32_e32 v3, 0x32a5705f, v0
	v_cvt_i32_f32_e32 v2, v2
	s_delay_alu instid0(VALU_DEP_2) | instskip(NEXT) | instid1(VALU_DEP_1)
	v_add_f32_e32 v1, v1, v3
	v_exp_f32_e32 v1, v1
	v_nop
	s_delay_alu instid0(TRANS32_DEP_1) | instskip(NEXT) | instid1(VALU_DEP_1)
	v_ldexp_f32 v1, v1, v2
	v_cndmask_b32_e32 v1, 0, v1, vcc_lo
	v_cmp_nlt_f32_e32 vcc_lo, 0x42b17218, v0
	s_delay_alu instid0(VALU_DEP_2) | instskip(NEXT) | instid1(VALU_DEP_1)
	v_cndmask_b32_e32 v0, 0x7f800000, v1, vcc_lo
	v_add_f32_e32 v0, 1.0, v0
	s_delay_alu instid0(VALU_DEP_1) | instskip(SKIP_1) | instid1(TRANS32_DEP_1)
	v_rcp_f32_e32 v0, v0
	v_nop
	v_fma_f32 v23, v0, -2.0, 1.0
.LBB23_19:                              ;   in Loop: Header=BB23_13 Depth=1
	s_and_not1_saveexec_b32 s24, s24
	s_cbranch_execz .LBB23_21
; %bb.20:                               ;   in Loop: Header=BB23_13 Depth=1
	v_mul_f32_e32 v0, v24, v24
	s_delay_alu instid0(VALU_DEP_1) | instskip(NEXT) | instid1(VALU_DEP_1)
	v_fmaak_f32 v1, s3, v0, 0x3ca908c9
	v_fmaak_f32 v1, v0, v1, 0xbd5c1c4e
	s_delay_alu instid0(VALU_DEP_1) | instskip(NEXT) | instid1(VALU_DEP_1)
	v_fmaak_f32 v1, v0, v1, 0x3e088382
	v_fmaak_f32 v1, v0, v1, 0xbeaaaa99
	s_delay_alu instid0(VALU_DEP_1) | instskip(NEXT) | instid1(VALU_DEP_1)
	v_mul_f32_e64 v1, |v24|, v1
	v_fma_f32 v23, v0, v1, |v24|
.LBB23_21:                              ;   in Loop: Header=BB23_13 Depth=1
	s_or_b32 exec_lo, exec_lo, s24
	s_mul_u64 s[24:25], s[4:5], s[10:11]
	s_wait_dscnt 0x0
	s_lshl_b64 s[24:25], s[24:25], 2
	s_barrier_signal -1
	s_add_nc_u64 s[24:25], s[8:9], s[24:25]
	s_barrier_wait -1
	v_add_nc_u64_e32 v[0:1], s[24:25], v[40:41]
	v_add_nc_u64_e32 v[2:3], s[24:25], v[42:43]
	v_cvt_f32_f16_e32 v25, v10
	v_bfi_b32 v10, 0x7fffffff, v23, v24
	s_or_b32 s24, s4, 16
	v_add_nc_u32_e32 v64, 0x800, v48
	v_add_nc_u64_e32 v[26:27], v[0:1], v[36:37]
	v_add_nc_u64_e32 v[44:45], v[2:3], v[36:37]
	s_clause 0x1
	global_load_b128 v[0:3], v[26:27], off
	global_load_b128 v[4:7], v[44:45], off
	v_dual_fmac_f32 v25, s26, v10 :: v_dual_max_num_f32 v10, v8, v8
	s_ashr_i32 s25, s24, 31
	s_delay_alu instid0(SALU_CYCLE_1) | instskip(NEXT) | instid1(VALU_DEP_1)
	s_mul_u64 s[24:25], s[24:25], s[10:11]
	v_add_f32_e32 v23, 0x40051340, v25
	s_lshl_b64 s[24:25], s[24:25], 2
	s_delay_alu instid0(SALU_CYCLE_1) | instskip(NEXT) | instid1(VALU_DEP_1)
	s_add_nc_u64 s[24:25], s[8:9], s[24:25]
	v_max_num_f32_e32 v10, v10, v23
	ds_bpermute_b32 v16, v16, v10
	s_wait_dscnt 0x0
	v_max_num_f32_e32 v16, v16, v16
	s_delay_alu instid0(VALU_DEP_1) | instskip(SKIP_3) | instid1(VALU_DEP_1)
	v_max_num_f32_e32 v10, v10, v16
	ds_bpermute_b32 v16, v17, v10
	s_wait_dscnt 0x0
	v_max_num_f32_e32 v16, v16, v16
	v_max_num_f32_e32 v10, v10, v16
	ds_bpermute_b32 v16, v18, v10
	v_dual_max_num_f32 v18, v20, v20 :: v_dual_add_nc_u32 v20, v57, v47
	s_wait_dscnt 0x0
	v_max_num_f32_e32 v16, v16, v16
	s_delay_alu instid0(VALU_DEP_1) | instskip(SKIP_3) | instid1(VALU_DEP_1)
	v_max_num_f32_e32 v10, v10, v16
	ds_bpermute_b32 v16, v19, v10
	s_wait_dscnt 0x0
	v_max_num_f32_e32 v16, v16, v16
	v_max_num_f32_e32 v16, v10, v16
	;; [unrolled: 1-line block ×3, first 2 shown]
	ds_bpermute_b32 v17, v21, v16
	s_wait_xcnt 0x0
	v_max_num_f32_e32 v44, v18, v10
	s_delay_alu instid0(VALU_DEP_1) | instskip(NEXT) | instid1(VALU_DEP_1)
	v_dual_sub_f32 v9, v9, v44 :: v_dual_sub_f32 v10, v11, v44
	v_mul_f32_e32 v11, 0x3fb8aa3b, v9
	s_delay_alu instid0(VALU_DEP_2) | instskip(NEXT) | instid1(VALU_DEP_2)
	v_cmp_ngt_f32_e32 vcc_lo, 0xc2ce8ed0, v10
	v_fma_f32 v19, 0x3fb8aa3b, v9, -v11
	v_rndne_f32_e32 v21, v11
	s_wait_dscnt 0x0
	v_dual_max_num_f32 v17, v17, v17 :: v_dual_mul_f32 v18, 0x3fb8aa3b, v10
	s_delay_alu instid0(VALU_DEP_1) | instskip(NEXT) | instid1(VALU_DEP_2)
	v_max_num_f32_e32 v45, v16, v17
	v_fma_f32 v16, 0x3fb8aa3b, v10, -v18
	v_rndne_f32_e32 v17, v18
	v_fmac_f32_e32 v19, 0x32a5705f, v9
	s_delay_alu instid0(VALU_DEP_4) | instskip(NEXT) | instid1(VALU_DEP_4)
	v_sub_f32_e32 v24, v8, v45
	v_fmac_f32_e32 v16, 0x32a5705f, v10
	s_delay_alu instid0(VALU_DEP_4) | instskip(SKIP_2) | instid1(VALU_DEP_2)
	v_sub_f32_e32 v18, v18, v17
	v_sub_f32_e32 v22, v25, v45
	v_cvt_i32_f32_e32 v17, v17
	v_dual_add_f32 v16, v18, v16 :: v_dual_mul_f32 v23, 0x3fb8aa3b, v22
	s_delay_alu instid0(VALU_DEP_1) | instskip(NEXT) | instid1(VALU_DEP_1)
	v_exp_f32_e32 v16, v16
	v_fma_f32 v18, 0x3fb8aa3b, v22, -v23
	v_sub_f32_e32 v11, v11, v21
	v_cvt_i32_f32_e32 v21, v21
	s_delay_alu instid0(VALU_DEP_2) | instskip(SKIP_1) | instid1(TRANS32_DEP_1)
	v_dual_fmac_f32 v18, 0x32a5705f, v22 :: v_dual_add_f32 v11, v11, v19
	v_rndne_f32_e32 v19, v23
	v_ldexp_f32 v16, v16, v17
	s_delay_alu instid0(VALU_DEP_3) | instskip(NEXT) | instid1(VALU_DEP_2)
	v_exp_f32_e32 v11, v11
	v_dual_sub_f32 v8, v23, v19 :: v_dual_mul_f32 v23, 0x3fb8aa3b, v24
	s_delay_alu instid0(VALU_DEP_2) | instskip(SKIP_2) | instid1(VALU_DEP_4)
	v_cndmask_b32_e32 v16, 0, v16, vcc_lo
	v_cmp_ngt_f32_e32 vcc_lo, 0xc2ce8ed0, v9
	v_cvt_i32_f32_e32 v19, v19
	v_add_f32_e32 v8, v8, v18
	s_delay_alu instid0(TRANS32_DEP_1) | instskip(SKIP_2) | instid1(VALU_DEP_4)
	v_ldexp_f32 v11, v11, v21
	v_rndne_f32_e32 v18, v23
	v_fma_f32 v17, 0x3fb8aa3b, v24, -v23
	v_exp_f32_e32 v8, v8
	s_delay_alu instid0(VALU_DEP_2) | instskip(SKIP_1) | instid1(VALU_DEP_3)
	v_dual_cndmask_b32 v11, 0, v11, vcc_lo :: v_dual_sub_f32 v21, v23, v18
	v_cmp_nlt_f32_e32 vcc_lo, 0x42b17218, v10
	v_fmac_f32_e32 v17, 0x32a5705f, v24
	v_cvt_i32_f32_e32 v18, v18
	s_delay_alu instid0(TRANS32_DEP_1) | instskip(SKIP_2) | instid1(VALU_DEP_3)
	v_ldexp_f32 v19, v8, v19
	v_cndmask_b32_e32 v8, 0x7f800000, v16, vcc_lo
	v_cmp_ngt_f32_e32 vcc_lo, 0xc2ce8ed0, v22
	v_dual_add_f32 v16, v21, v17 :: v_dual_cndmask_b32 v17, 0, v19
	v_cmp_nlt_f32_e32 vcc_lo, 0x42b17218, v9
	v_cndmask_b32_e32 v10, 0x7f800000, v11, vcc_lo
	v_cmp_nlt_f32_e32 vcc_lo, 0x42b17218, v22
	s_delay_alu instid0(VALU_DEP_4) | instskip(SKIP_3) | instid1(TRANS32_DEP_1)
	v_exp_f32_e32 v11, v16
	v_cndmask_b32_e32 v9, 0x7f800000, v17, vcc_lo
	v_add_nc_u64_e32 v[16:17], s[24:25], v[40:41]
	v_cmp_ngt_f32_e32 vcc_lo, 0xc2ce8ed0, v24
	v_ldexp_f32 v11, v11, v18
	v_add_nc_u64_e32 v[18:19], s[24:25], v[42:43]
	v_cvt_pk_f16_f32 v22, v8, v9
	ds_store_b32 v20, v22
	s_wait_loadcnt 0x1
	ds_store_b128 v55, v[0:3]
	s_wait_loadcnt 0x0
	ds_store_b128 v58, v[4:7]
	s_wait_dscnt 0x0
	s_barrier_signal -1
	s_barrier_wait -1
	ds_load_b128 v[0:3], v57
	v_add_nc_u64_e32 v[4:5], v[16:17], v[36:37]
	v_add_nc_u64_e32 v[6:7], v[18:19], v[36:37]
	ds_load_b128 v[16:19], v57 offset:16
	v_cndmask_b32_e32 v11, 0, v11, vcc_lo
	v_cmp_nlt_f32_e32 vcc_lo, 0x42b17218, v24
	s_delay_alu instid0(VALU_DEP_2) | instskip(NEXT) | instid1(VALU_DEP_1)
	v_cndmask_b32_e32 v11, 0x7f800000, v11, vcc_lo
	v_cvt_f16_f32_e32 v90, v11
	s_wait_dscnt 0x1
	v_dual_lshrrev_b32 v92, 16, v0 :: v_dual_lshrrev_b32 v95, 16, v2
	v_and_b32_e32 v91, 0xffff, v0
	s_wait_dscnt 0x0
	v_lshrrev_b32_e32 v99, 16, v16
	v_cvt_f16_f32_e32 v21, v10
	v_pk_fma_f32 v[30:31], v[30:31], v[10:11], v[8:9]
	v_and_b32_e32 v100, 0xffff, v16
	v_mul_u32_u24_e32 v16, 0x10001, v91
	v_dual_lshrrev_b32 v97, 16, v3 :: v_dual_lshrrev_b32 v101, 16, v17
	v_and_b32_e32 v21, 0xffff, v21
	v_and_b32_e32 v102, 0xffff, v17
	v_and_b32_e32 v93, 0xffff, v1
	v_lshrrev_b32_e32 v94, 16, v1
	v_and_b32_e32 v96, 0xffff, v2
	v_mul_u32_u24_e32 v65, 0x10001, v21
	ds_load_2addr_b64 v[8:11], v48 offset1:32
	ds_load_b128 v[20:23], v57 offset:32
	ds_load_b128 v[24:27], v57 offset:48
	ds_load_2addr_b64 v[66:69], v48 offset0:64 offset1:96
	ds_load_2addr_b64 v[70:73], v48 offset0:128 offset1:160
	;; [unrolled: 1-line block ×3, first 2 shown]
	ds_load_2addr_b64 v[78:81], v64 offset1:32
	ds_load_2addr_b64 v[82:85], v64 offset0:64 offset1:96
	ds_load_2addr_b64 v[86:89], v64 offset0:128 offset1:160
	v_and_b32_e32 v98, 0xffff, v3
	ds_load_2addr_b64 v[0:3], v64 offset0:192 offset1:224
	s_wait_dscnt 0x0
	v_pk_mul_f16 v15, v15, v65
	s_barrier_signal -1
	s_barrier_wait -1
	v_and_b32_e32 v90, 0xffff, v90
	v_mul_u32_u24_e32 v92, 0x10001, v92
	v_mul_u32_u24_e32 v94, 0x10001, v94
	;; [unrolled: 1-line block ×3, first 2 shown]
	v_pk_mul_f16 v17, v8, v16
	v_pk_fma_f16 v112, v9, v16, v15
	v_mul_u32_u24_e32 v90, 0x10001, v90
	v_pk_mul_f16 v8, v8, v92
	v_mul_u32_u24_e32 v95, 0x10001, v95
	v_pk_fma_f16 v65, v14, v65, v17
	s_clause 0x1
	global_load_b128 v[14:17], v[4:5], off
	global_load_b128 v[4:7], v[6:7], off
	v_pk_mul_f16 v13, v13, v90
	v_pk_fma_f16 v8, v12, v90, v8
	v_mul_u32_u24_e32 v96, 0x10001, v96
	v_pk_fma_f16 v12, v11, v93, v112
	v_mul_u32_u24_e32 v97, 0x10001, v97
	v_pk_fma_f16 v9, v9, v92, v13
	v_pk_fma_f16 v8, v10, v94, v8
	v_mul_u32_u24_e32 v98, 0x10001, v98
	v_mul_u32_u24_e32 v99, 0x10001, v99
	;; [unrolled: 1-line block ×3, first 2 shown]
	v_pk_fma_f16 v9, v11, v94, v9
	v_pk_fma_f16 v11, v10, v93, v65
	;; [unrolled: 1-line block ×4, first 2 shown]
	v_dual_lshrrev_b32 v103, 16, v18 :: v_dual_lshrrev_b32 v104, 16, v19
	v_pk_fma_f16 v9, v67, v95, v9
	v_pk_fma_f16 v11, v66, v96, v11
	v_pk_fma_f16 v8, v68, v97, v8
	v_pk_fma_f16 v10, v69, v98, v10
	v_mul_u32_u24_e32 v101, 0x10001, v101
	v_pk_fma_f16 v9, v69, v97, v9
	v_pk_fma_f16 v11, v68, v98, v11
	;; [unrolled: 1-line block ×3, first 2 shown]
	v_and_b32_e32 v18, 0xffff, v18
	v_mul_u32_u24_e32 v102, 0x10001, v102
	v_pk_fma_f16 v9, v71, v99, v9
	v_pk_fma_f16 v10, v71, v100, v10
	;; [unrolled: 1-line block ×3, first 2 shown]
	v_and_b32_e32 v19, 0xffff, v19
	v_mul_u32_u24_e32 v103, 0x10001, v103
	v_pk_fma_f16 v9, v73, v101, v9
	v_pk_fma_f16 v8, v72, v101, v8
	v_mul_u32_u24_e32 v18, 0x10001, v18
	v_pk_fma_f16 v10, v73, v102, v10
	v_pk_fma_f16 v11, v72, v102, v11
	v_dual_lshrrev_b32 v105, 16, v20 :: v_dual_lshrrev_b32 v107, 16, v22
	v_mul_u32_u24_e32 v13, 0x10001, v19
	v_mul_u32_u24_e32 v19, 0x10001, v104
	v_pk_fma_f16 v9, v75, v103, v9
	v_pk_fma_f16 v8, v74, v103, v8
	v_and_b32_e32 v20, 0xffff, v20
	v_pk_fma_f16 v10, v75, v18, v10
	v_pk_fma_f16 v11, v74, v18, v11
	v_lshrrev_b32_e32 v106, 16, v21
	v_mul_u32_u24_e32 v92, 0x10001, v105
	v_pk_fma_f16 v9, v77, v19, v9
	v_pk_fma_f16 v8, v76, v19, v8
	v_and_b32_e32 v21, 0xffff, v21
	v_mul_u32_u24_e32 v20, 0x10001, v20
	v_pk_fma_f16 v10, v77, v13, v10
	v_pk_fma_f16 v11, v76, v13, v11
	v_mul_u32_u24_e32 v12, 0x10001, v106
	v_pk_fma_f16 v9, v79, v92, v9
	v_pk_fma_f16 v8, v78, v92, v8
	v_and_b32_e32 v22, 0xffff, v22
	v_mul_u32_u24_e32 v21, 0x10001, v21
	v_pk_fma_f16 v10, v79, v20, v10
	v_pk_fma_f16 v11, v78, v20, v11
	v_dual_lshrrev_b32 v108, 16, v23 :: v_dual_lshrrev_b32 v109, 16, v24
	v_mul_u32_u24_e32 v65, 0x10001, v107
	v_pk_fma_f16 v9, v81, v12, v9
	v_pk_fma_f16 v8, v80, v12, v8
	v_and_b32_e32 v23, 0xffff, v23
	v_mul_u32_u24_e32 v22, 0x10001, v22
	v_pk_fma_f16 v10, v81, v21, v10
	v_pk_fma_f16 v11, v80, v21, v11
	v_mul_u32_u24_e32 v66, 0x10001, v108
	v_pk_fma_f16 v9, v83, v65, v9
	v_pk_fma_f16 v8, v82, v65, v8
	v_and_b32_e32 v24, 0xffff, v24
	v_mul_u32_u24_e32 v23, 0x10001, v23
	v_pk_fma_f16 v10, v83, v22, v10
	v_pk_fma_f16 v11, v82, v22, v11
	v_dual_lshrrev_b32 v110, 16, v25 :: v_dual_lshrrev_b32 v111, 16, v26
	v_and_b32_e32 v25, 0xffff, v25
	v_and_b32_e32 v26, 0xffff, v26
	v_lshrrev_b32_e32 v91, 16, v27
	v_and_b32_e32 v27, 0xffff, v27
	v_mul_u32_u24_e32 v13, 0x10001, v109
	v_pk_fma_f16 v9, v85, v66, v9
	v_pk_fma_f16 v8, v84, v66, v8
	v_mul_u32_u24_e32 v18, 0x10001, v24
	v_pk_fma_f16 v10, v85, v23, v10
	v_pk_fma_f16 v11, v84, v23, v11
	v_mul_u32_u24_e32 v19, 0x10001, v25
	v_mul_u32_u24_e32 v20, 0x10001, v26
	v_pk_fma_f16 v9, v87, v13, v9
	v_pk_fma_f16 v8, v86, v13, v8
	v_mul_u32_u24_e32 v13, 0x10001, v27
	;; [unrolled: 4-line block ×3, first 2 shown]
	s_wait_loadcnt 0x1
	ds_store_b128 v55, v[14:17]
	s_wait_loadcnt 0x0
	ds_store_b128 v58, v[4:7]
	s_wait_dscnt 0x0
	s_barrier_signal -1
	s_barrier_wait -1
	ds_load_b128 v[24:27], v57 offset:64
	v_pk_fma_f16 v10, v89, v19, v10
	v_pk_fma_f16 v9, v89, v12, v9
	;; [unrolled: 1-line block ×4, first 2 shown]
	v_mul_u32_u24_e32 v12, 0x10001, v91
	v_pk_fma_f16 v10, v1, v20, v10
	v_pk_fma_f16 v1, v1, v21, v9
	v_pk_fma_f16 v9, v0, v20, v11
	v_pk_fma_f16 v0, v0, v21, v8
	s_delay_alu instid0(VALU_DEP_4) | instskip(NEXT) | instid1(VALU_DEP_4)
	v_pk_fma_f16 v65, v3, v13, v10
	v_pk_fma_f16 v86, v3, v12, v1
	s_delay_alu instid0(VALU_DEP_4) | instskip(NEXT) | instid1(VALU_DEP_4)
	v_pk_fma_f16 v87, v2, v13, v9
	v_pk_fma_f16 v88, v2, v12, v0
	ds_load_b128 v[20:23], v57 offset:80
	ds_load_2addr_b64 v[0:3], v48 offset1:32
	ds_load_b128 v[16:19], v57 offset:96
	ds_load_b128 v[12:15], v57 offset:112
	ds_load_2addr_b64 v[4:7], v48 offset0:64 offset1:96
	ds_load_2addr_b64 v[8:11], v48 offset0:128 offset1:160
	;; [unrolled: 1-line block ×3, first 2 shown]
	ds_load_2addr_b64 v[70:73], v64 offset1:32
	ds_load_2addr_b64 v[74:77], v64 offset0:64 offset1:96
	ds_load_2addr_b64 v[78:81], v64 offset0:128 offset1:160
	;; [unrolled: 1-line block ×3, first 2 shown]
	s_wait_dscnt 0x0
	s_barrier_signal -1
	s_barrier_wait -1
	v_lshrrev_b32_e32 v64, 16, v24
	v_and_b32_e32 v24, 0xffff, v24
	v_dual_lshrrev_b32 v89, 16, v25 :: v_dual_lshrrev_b32 v90, 16, v26
	v_and_b32_e32 v25, 0xffff, v25
	s_delay_alu instid0(VALU_DEP_4) | instskip(NEXT) | instid1(VALU_DEP_4)
	v_mul_u32_u24_e32 v64, 0x10001, v64
	v_mul_u32_u24_e32 v24, 0x10001, v24
	v_and_b32_e32 v26, 0xffff, v26
	v_mul_u32_u24_e32 v89, 0x10001, v89
	v_mul_u32_u24_e32 v25, 0x10001, v25
	v_dual_lshrrev_b32 v91, 16, v27 :: v_dual_lshrrev_b32 v92, 16, v20
	v_pk_fma_f16 v87, v0, v24, v87
	v_pk_fma_f16 v0, v0, v64, v88
	;; [unrolled: 1-line block ×4, first 2 shown]
	v_and_b32_e32 v27, 0xffff, v27
	v_mul_u32_u24_e32 v26, 0x10001, v26
	v_mul_u32_u24_e32 v90, 0x10001, v90
	v_pk_fma_f16 v64, v2, v25, v87
	v_pk_fma_f16 v0, v2, v89, v0
	v_pk_fma_f16 v2, v3, v25, v24
	v_pk_fma_f16 v1, v3, v89, v1
	v_and_b32_e32 v20, 0xffff, v20
	v_mul_u32_u24_e32 v27, 0x10001, v27
	v_mul_u32_u24_e32 v91, 0x10001, v91
	v_pk_fma_f16 v24, v4, v26, v64
	v_pk_fma_f16 v0, v4, v90, v0
	v_pk_fma_f16 v2, v5, v26, v2
	v_pk_fma_f16 v1, v5, v90, v1
	v_dual_lshrrev_b32 v93, 16, v21 :: v_dual_lshrrev_b32 v94, 16, v22
	v_and_b32_e32 v21, 0xffff, v21
	v_mul_u32_u24_e32 v20, 0x10001, v20
	v_mul_u32_u24_e32 v92, 0x10001, v92
	v_pk_fma_f16 v5, v6, v27, v24
	v_pk_fma_f16 v0, v6, v91, v0
	v_pk_fma_f16 v2, v7, v27, v2
	v_pk_fma_f16 v1, v7, v91, v1
	v_and_b32_e32 v22, 0xffff, v22
	v_mul_u32_u24_e32 v21, 0x10001, v21
	v_mul_u32_u24_e32 v93, 0x10001, v93
	v_pk_fma_f16 v5, v8, v20, v5
	v_pk_fma_f16 v0, v8, v92, v0
	v_pk_fma_f16 v2, v9, v20, v2
	v_pk_fma_f16 v1, v9, v92, v1
	v_dual_lshrrev_b32 v95, 16, v23 :: v_dual_lshrrev_b32 v96, 16, v16
	;; [unrolled: 15-line block ×4, first 2 shown]
	v_and_b32_e32 v19, 0xffff, v19
	v_mul_u32_u24_e32 v4, 0x10001, v18
	v_mul_u32_u24_e32 v6, 0x10001, v98
	v_pk_fma_f16 v5, v72, v17, v5
	v_pk_fma_f16 v0, v72, v3, v0
	v_pk_fma_f16 v2, v73, v17, v2
	v_pk_fma_f16 v1, v73, v3, v1
	v_and_b32_e32 v12, 0xffff, v12
	v_mul_u32_u24_e32 v7, 0x10001, v19
	v_mul_u32_u24_e32 v8, 0x10001, v99
	v_pk_fma_f16 v5, v74, v4, v5
	v_pk_fma_f16 v0, v74, v6, v0
	;; [unrolled: 1-line block ×4, first 2 shown]
	s_load_b32 s5, s[20:21], 0x4
	v_dual_lshrrev_b32 v101, 16, v13 :: v_dual_lshrrev_b32 v102, 16, v14
	v_and_b32_e32 v13, 0xffff, v13
	v_mul_u32_u24_e32 v9, 0x10001, v12
	v_mul_u32_u24_e32 v10, 0x10001, v100
	v_pk_fma_f16 v5, v76, v7, v5
	v_pk_fma_f16 v0, v76, v8, v0
	;; [unrolled: 1-line block ×4, first 2 shown]
	v_and_b32_e32 v14, 0xffff, v14
	v_mul_u32_u24_e32 v11, 0x10001, v13
	v_mul_u32_u24_e32 v3, 0x10001, v101
	v_pk_fma_f16 v5, v78, v9, v5
	v_pk_fma_f16 v0, v78, v10, v0
	;; [unrolled: 1-line block ×4, first 2 shown]
	v_lshrrev_b32_e32 v103, 16, v15
	v_and_b32_e32 v15, 0xffff, v15
	v_mul_u32_u24_e32 v4, 0x10001, v14
	v_mul_u32_u24_e32 v6, 0x10001, v102
	v_pk_fma_f16 v5, v80, v11, v5
	v_pk_fma_f16 v0, v80, v3, v0
	;; [unrolled: 1-line block ×4, first 2 shown]
	v_mul_u32_u24_e32 v7, 0x10001, v15
	v_mul_u32_u24_e32 v3, 0x10001, v103
	v_pk_fma_f16 v5, v82, v4, v5
	v_pk_fma_f16 v0, v82, v6, v0
	;; [unrolled: 1-line block ×4, first 2 shown]
	s_wait_kmcnt 0x0
	s_lshl_b32 s5, s5, 5
	v_pk_fma_f16 v14, v84, v7, v5
	v_pk_fma_f16 v12, v84, v3, v0
	;; [unrolled: 1-line block ×4, first 2 shown]
	s_add_co_i32 s4, s5, s4
	s_delay_alu instid0(SALU_CYCLE_1)
	s_cmp_ge_i32 s4, s28
	s_cbranch_scc1 .LBB23_23
; %bb.22:                               ;   in Loop: Header=BB23_13 Depth=1
	v_dual_mov_b32 v9, v44 :: v_dual_mov_b32 v8, v45
	s_branch .LBB23_13
.LBB23_23:
	v_mov_b32_e32 v0, v49
.LBB23_24:
	v_cmp_lt_i32_e32 vcc_lo, v63, v50
	s_cmp_lg_u64 s[12:13], 0
	s_cselect_b32 s3, -1, 0
	s_cmp_eq_u32 s29, 0
	v_cndmask_b32_e32 v1, v0, v63, vcc_lo
	v_cmp_lt_i32_e32 vcc_lo, v59, v50
	s_cselect_b32 s4, -1, 0
	s_delay_alu instid0(SALU_CYCLE_1) | instskip(NEXT) | instid1(VALU_DEP_2)
	s_and_b32 s3, s4, s3
	v_lshlrev_b32_e32 v1, 2, v1
	ds_bpermute_b32 v2, v1, v30
	ds_bpermute_b32 v3, v1, v31
	v_cndmask_b32_e32 v1, v0, v59, vcc_lo
	v_cmp_lt_i32_e32 vcc_lo, v60, v50
	s_delay_alu instid0(VALU_DEP_2)
	v_lshlrev_b32_e32 v1, 2, v1
	s_wait_dscnt 0x0
	v_pk_add_f32 v[2:3], v[30:31], v[2:3]
	ds_bpermute_b32 v4, v1, v2
	ds_bpermute_b32 v5, v1, v3
	v_cndmask_b32_e32 v1, v0, v60, vcc_lo
	v_cmp_lt_i32_e32 vcc_lo, v61, v50
	s_delay_alu instid0(VALU_DEP_2)
	v_lshlrev_b32_e32 v1, 2, v1
	s_wait_dscnt 0x0
	v_pk_add_f32 v[2:3], v[2:3], v[4:5]
	ds_bpermute_b32 v4, v1, v2
	ds_bpermute_b32 v5, v1, v3
	v_cndmask_b32_e32 v1, v0, v61, vcc_lo
	v_cmp_lt_i32_e32 vcc_lo, v62, v50
	s_delay_alu instid0(VALU_DEP_2) | instskip(SKIP_2) | instid1(VALU_DEP_1)
	v_dual_cndmask_b32 v0, v0, v62 :: v_dual_lshlrev_b32 v1, 2, v1
	s_and_b32 vcc_lo, exec_lo, s3
	s_mov_b32 s3, 0
	v_lshlrev_b32_e32 v6, 2, v0
	s_wait_dscnt 0x0
	v_pk_add_f32 v[2:3], v[2:3], v[4:5]
	ds_bpermute_b32 v4, v1, v2
	ds_bpermute_b32 v5, v1, v3
	s_wait_dscnt 0x0
	v_pk_add_f32 v[0:1], v[2:3], v[4:5]
	v_add_nc_u32_e32 v2, s33, v28
	ds_bpermute_b32 v4, v6, v0
	ds_bpermute_b32 v5, v6, v1
	s_cbranch_vccnz .LBB23_27
; %bb.25:
	v_add_nc_u32_e32 v3, s33, v28
	s_wait_dscnt 0x0
	v_pk_add_f32 v[0:1], v[0:1], v[4:5]
	s_and_not1_b32 vcc_lo, exec_lo, s3
	s_cbranch_vccz .LBB23_28
; %bb.26:
	v_mov_b32_e32 v2, v3
	s_branch .LBB23_29
.LBB23_27:
                                        ; implicit-def: $vgpr3
	s_wait_dscnt 0x0
	v_pk_add_f32 v[0:1], v[0:1], v[4:5]
.LBB23_28:
	v_dual_ashrrev_i32 v3, 31, v2 :: v_dual_max_num_f32 v7, v45, v45
	s_delay_alu instid0(VALU_DEP_1) | instskip(SKIP_4) | instid1(VALU_DEP_1)
	v_lshl_add_u64 v[4:5], v[2:3], 2, s[12:13]
	v_max_num_f32_e32 v3, v44, v44
	global_load_b64 v[4:5], v[4:5], off
	s_wait_loadcnt 0x0
	v_dual_max_num_f32 v6, v4, v4 :: v_dual_max_num_f32 v8, v5, v5
	v_max_num_f32_e32 v6, v3, v6
	s_delay_alu instid0(VALU_DEP_1) | instskip(NEXT) | instid1(VALU_DEP_1)
	v_dual_max_num_f32 v7, v7, v8 :: v_dual_sub_f32 v3, v44, v6
	v_dual_sub_f32 v8, v4, v6 :: v_dual_sub_f32 v9, v45, v7
	v_sub_f32_e32 v10, v5, v7
	v_mov_b64_e32 v[44:45], v[6:7]
	s_delay_alu instid0(VALU_DEP_3) | instskip(NEXT) | instid1(VALU_DEP_4)
	v_dual_mul_f32 v4, 0x3fb8aa3b, v3 :: v_dual_mul_f32 v5, 0x3fb8aa3b, v8
	v_mul_f32_e32 v11, 0x3fb8aa3b, v9
	v_cmp_ngt_f32_e32 vcc_lo, 0xc2ce8ed0, v3
	s_delay_alu instid0(VALU_DEP_3) | instskip(SKIP_1) | instid1(VALU_DEP_4)
	v_fma_f32 v17, 0x3fb8aa3b, v3, -v4
	v_rndne_f32_e32 v18, v4
	v_rndne_f32_e32 v22, v11
	v_fma_f32 v21, 0x3fb8aa3b, v9, -v11
	v_rndne_f32_e32 v20, v5
	s_delay_alu instid0(VALU_DEP_4) | instskip(NEXT) | instid1(VALU_DEP_4)
	v_dual_fmac_f32 v17, 0x32a5705f, v3 :: v_dual_sub_f32 v4, v4, v18
	v_sub_f32_e32 v11, v11, v22
	v_mul_f32_e32 v16, 0x3fb8aa3b, v10
	v_fma_f32 v19, 0x3fb8aa3b, v8, -v5
	v_cvt_i32_f32_e32 v18, v18
	v_dual_add_f32 v4, v4, v17 :: v_dual_sub_f32 v5, v5, v20
	s_delay_alu instid0(VALU_DEP_4) | instskip(SKIP_2) | instid1(VALU_DEP_4)
	v_fma_f32 v23, 0x3fb8aa3b, v10, -v16
	v_rndne_f32_e32 v24, v16
	v_fmac_f32_e32 v21, 0x32a5705f, v9
	v_exp_f32_e32 v4, v4
	v_cvt_i32_f32_e32 v17, v20
	s_delay_alu instid0(VALU_DEP_3) | instskip(SKIP_1) | instid1(TRANS32_DEP_1)
	v_sub_f32_e32 v16, v16, v24
	v_cvt_i32_f32_e32 v20, v24
	v_ldexp_f32 v4, v4, v18
	s_delay_alu instid0(VALU_DEP_1) | instskip(NEXT) | instid1(VALU_DEP_1)
	v_dual_fmac_f32 v23, 0x32a5705f, v10 :: v_dual_cndmask_b32 v4, 0, v4
	v_dual_fmac_f32 v19, 0x32a5705f, v8 :: v_dual_add_f32 v16, v16, v23
	v_add_f32_e32 v11, v11, v21
	v_cmp_ngt_f32_e32 vcc_lo, 0xc2ce8ed0, v9
	s_delay_alu instid0(VALU_DEP_3) | instskip(SKIP_1) | instid1(VALU_DEP_4)
	v_add_f32_e32 v5, v5, v19
	v_cvt_i32_f32_e32 v19, v22
	v_exp_f32_e32 v11, v11
	v_exp_f32_e32 v16, v16
	s_delay_alu instid0(VALU_DEP_2) | instskip(NEXT) | instid1(TRANS32_DEP_3)
	v_exp_f32_e32 v5, v5
	v_ldexp_f32 v11, v11, v19
	s_delay_alu instid0(VALU_DEP_1) | instskip(SKIP_1) | instid1(TRANS32_DEP_1)
	v_cndmask_b32_e32 v11, 0, v11, vcc_lo
	v_cmp_nlt_f32_e32 vcc_lo, 0x42b17218, v3
	v_ldexp_f32 v3, v5, v17
	v_cndmask_b32_e32 v4, 0x7f800000, v4, vcc_lo
	v_cmp_nlt_f32_e32 vcc_lo, 0x42b17218, v9
	v_ldexp_f32 v9, v16, v20
	v_cndmask_b32_e32 v5, 0x7f800000, v11, vcc_lo
	v_cmp_ngt_f32_e32 vcc_lo, 0xc2ce8ed0, v8
	v_cvt_f16_f32_e32 v11, v4
	s_delay_alu instid0(VALU_DEP_3) | instskip(SKIP_2) | instid1(VALU_DEP_4)
	v_cvt_f16_f32_e32 v16, v5
	v_cndmask_b32_e32 v3, 0, v3, vcc_lo
	v_cmp_ngt_f32_e32 vcc_lo, 0xc2ce8ed0, v10
	v_and_b32_e32 v11, 0xffff, v11
	v_cndmask_b32_e32 v9, 0, v9, vcc_lo
	v_cmp_nlt_f32_e32 vcc_lo, 0x42b17218, v8
	v_cndmask_b32_e32 v8, 0x7f800000, v3, vcc_lo
	v_and_b32_e32 v3, 0xffff, v16
	v_cmp_nlt_f32_e32 vcc_lo, 0x42b17218, v10
	v_mul_u32_u24_e32 v10, 0x10001, v11
	s_delay_alu instid0(VALU_DEP_3) | instskip(SKIP_1) | instid1(VALU_DEP_3)
	v_mul_u32_u24_e32 v3, 0x10001, v3
	v_cndmask_b32_e32 v9, 0x7f800000, v9, vcc_lo
	v_pk_mul_f16 v14, v14, v10
	v_pk_mul_f16 v15, v15, v10
	s_delay_alu instid0(VALU_DEP_4) | instskip(NEXT) | instid1(VALU_DEP_4)
	v_pk_mul_f16 v12, v12, v3
	v_pk_fma_f32 v[0:1], v[0:1], v[4:5], v[8:9]
	v_pk_mul_f16 v13, v13, v3
.LBB23_29:
	s_load_b32 s0, s[0:1], 0xd4
	v_mov_b32_e32 v4, 1.0
	s_wait_kmcnt 0x0
	s_cmp_lg_u32 s0, 1
	s_cselect_b32 s3, -1, 0
	s_cmp_eq_u32 s0, 1
	s_cselect_b32 s1, -1, 0
	s_and_b32 vcc_lo, exec_lo, s3
	s_cbranch_vccnz .LBB23_31
; %bb.30:
	v_div_scale_f32 v3, null, v0, v0, 1.0
	s_delay_alu instid0(VALU_DEP_1) | instskip(SKIP_1) | instid1(TRANS32_DEP_1)
	v_rcp_f32_e32 v4, v3
	v_nop
	v_fma_f32 v5, -v3, v4, 1.0
	s_delay_alu instid0(VALU_DEP_1) | instskip(SKIP_1) | instid1(VALU_DEP_1)
	v_fmac_f32_e32 v4, v5, v4
	v_div_scale_f32 v5, vcc_lo, 1.0, v0, 1.0
	v_mul_f32_e32 v6, v5, v4
	s_delay_alu instid0(VALU_DEP_1) | instskip(NEXT) | instid1(VALU_DEP_1)
	v_fma_f32 v7, -v3, v6, v5
	v_fmac_f32_e32 v6, v7, v4
	s_delay_alu instid0(VALU_DEP_1) | instskip(NEXT) | instid1(VALU_DEP_1)
	v_fma_f32 v3, -v3, v6, v5
	v_div_fmas_f32 v3, v3, v4, v6
	s_delay_alu instid0(VALU_DEP_1)
	v_div_fixup_f32 v4, v3, v0, 1.0
.LBB23_31:
	v_mad_u32 v3, s2, s22, v46
	v_lshrrev_b32_e32 v5, 16, v15
	v_cvt_f32_f16_e32 v6, v14
	v_cvt_f32_f16_e32 v10, v15
	v_cmp_eq_u32_e32 vcc_lo, 0, v29
	v_mov_b32_e32 v9, 0
	v_cvt_f32_f16_e32 v11, v5
	s_and_b32 s2, vcc_lo, s3
	v_mad_u32 v2, v3, s23, v2
	v_lshrrev_b32_e32 v3, 16, v14
	s_delay_alu instid0(VALU_DEP_1) | instskip(NEXT) | instid1(VALU_DEP_1)
	v_cvt_f32_f16_e32 v7, v3
	v_pk_mul_f32 v[6:7], v[4:5], v[6:7] op_sel_hi:[0,1]
	s_delay_alu instid0(VALU_DEP_4) | instskip(NEXT) | instid1(VALU_DEP_1)
	v_mad_u32 v2, s0, v2, s29
	v_lshl_add_u32 v8, v2, 7, v47
	s_delay_alu instid0(VALU_DEP_1)
	v_lshl_add_u64 v[14:15], v[8:9], 2, s[16:17]
	v_pk_mul_f32 v[8:9], v[4:5], v[10:11] op_sel_hi:[0,1]
	global_store_b128 v[14:15], v[6:9], off
	s_wait_xcnt 0x0
	s_and_saveexec_b32 s3, s2
	s_cbranch_execz .LBB23_33
; %bb.32:
	v_dual_mov_b32 v4, v44 :: v_dual_mov_b32 v5, v0
	global_store_b64 v2, v[4:5], s[18:19] scale_offset
.LBB23_33:
	s_wait_xcnt 0x0
	s_or_b32 exec_lo, exec_lo, s3
	v_mov_b32_e32 v0, 1.0
	s_and_not1_b32 vcc_lo, exec_lo, s1
	s_cbranch_vccnz .LBB23_35
; %bb.34:
	v_div_scale_f32 v0, null, v1, v1, 1.0
	s_delay_alu instid0(VALU_DEP_1) | instskip(SKIP_1) | instid1(TRANS32_DEP_1)
	v_rcp_f32_e32 v3, v0
	v_nop
	v_fma_f32 v4, -v0, v3, 1.0
	s_delay_alu instid0(VALU_DEP_1) | instskip(SKIP_1) | instid1(VALU_DEP_1)
	v_fmac_f32_e32 v3, v4, v3
	v_div_scale_f32 v4, vcc_lo, 1.0, v1, 1.0
	v_mul_f32_e32 v5, v4, v3
	s_delay_alu instid0(VALU_DEP_1) | instskip(NEXT) | instid1(VALU_DEP_1)
	v_fma_f32 v6, -v0, v5, v4
	v_fmac_f32_e32 v5, v6, v3
	s_delay_alu instid0(VALU_DEP_1) | instskip(NEXT) | instid1(VALU_DEP_1)
	v_fma_f32 v0, -v0, v5, v4
	v_div_fmas_f32 v0, v0, v3, v5
	s_delay_alu instid0(VALU_DEP_1)
	v_div_fixup_f32 v0, v0, v1, 1.0
.LBB23_35:
	v_dual_add_nc_u32 v2, s0, v2 :: v_dual_lshrrev_b32 v3, 16, v12
	v_dual_mov_b32 v5, 0 :: v_dual_lshrrev_b32 v9, 16, v13
	v_cvt_f32_f16_e32 v6, v12
	s_delay_alu instid0(VALU_DEP_3) | instskip(NEXT) | instid1(VALU_DEP_4)
	v_lshl_add_u32 v4, v2, 7, v47
	v_cvt_f32_f16_e32 v7, v3
	v_cvt_f32_f16_e32 v8, v13
	;; [unrolled: 1-line block ×3, first 2 shown]
	s_delay_alu instid0(VALU_DEP_4) | instskip(NEXT) | instid1(VALU_DEP_4)
	v_lshl_add_u64 v[10:11], v[4:5], 2, s[16:17]
	v_pk_mul_f32 v[4:5], v[0:1], v[6:7] op_sel_hi:[0,1]
	s_delay_alu instid0(VALU_DEP_3)
	v_pk_mul_f32 v[6:7], v[0:1], v[8:9] op_sel_hi:[0,1]
	global_store_b128 v[10:11], v[4:7], off
	s_wait_xcnt 0x0
	s_and_saveexec_b32 s0, s2
	s_cbranch_execz .LBB23_37
; %bb.36:
	v_mov_b32_e32 v0, v45
	global_store_b64 v2, v[0:1], s[18:19] scale_offset
.LBB23_37:
	s_sendmsg sendmsg(MSG_DEALLOC_VGPRS)
	s_endpgm
	.section	.rodata,"a",@progbits
	.p2align	6, 0x0
	.amdhsa_kernel _ZL15flash_attn_tileILi192ELi128ELi1ELi8ELb1EEvPKcS1_S1_S1_S1_PKiPfP15HIP_vector_typeIfLj2EEffffjfiS5_IjLj3EEiiiiiiiiiiiliiliiiiil
		.amdhsa_group_segment_fixed_size 8192
		.amdhsa_private_segment_fixed_size 0
		.amdhsa_kernarg_size 464
		.amdhsa_user_sgpr_count 2
		.amdhsa_user_sgpr_dispatch_ptr 0
		.amdhsa_user_sgpr_queue_ptr 0
		.amdhsa_user_sgpr_kernarg_segment_ptr 1
		.amdhsa_user_sgpr_dispatch_id 0
		.amdhsa_user_sgpr_kernarg_preload_length 0
		.amdhsa_user_sgpr_kernarg_preload_offset 0
		.amdhsa_user_sgpr_private_segment_size 0
		.amdhsa_wavefront_size32 1
		.amdhsa_uses_dynamic_stack 0
		.amdhsa_enable_private_segment 0
		.amdhsa_system_sgpr_workgroup_id_x 1
		.amdhsa_system_sgpr_workgroup_id_y 1
		.amdhsa_system_sgpr_workgroup_id_z 1
		.amdhsa_system_sgpr_workgroup_info 0
		.amdhsa_system_vgpr_workitem_id 1
		.amdhsa_next_free_vgpr 113
		.amdhsa_next_free_sgpr 43
		.amdhsa_named_barrier_count 0
		.amdhsa_reserve_vcc 1
		.amdhsa_float_round_mode_32 0
		.amdhsa_float_round_mode_16_64 0
		.amdhsa_float_denorm_mode_32 3
		.amdhsa_float_denorm_mode_16_64 3
		.amdhsa_fp16_overflow 0
		.amdhsa_memory_ordered 1
		.amdhsa_forward_progress 1
		.amdhsa_inst_pref_size 67
		.amdhsa_round_robin_scheduling 0
		.amdhsa_exception_fp_ieee_invalid_op 0
		.amdhsa_exception_fp_denorm_src 0
		.amdhsa_exception_fp_ieee_div_zero 0
		.amdhsa_exception_fp_ieee_overflow 0
		.amdhsa_exception_fp_ieee_underflow 0
		.amdhsa_exception_fp_ieee_inexact 0
		.amdhsa_exception_int_div_zero 0
	.end_amdhsa_kernel
	.section	.text._ZL15flash_attn_tileILi192ELi128ELi1ELi8ELb1EEvPKcS1_S1_S1_S1_PKiPfP15HIP_vector_typeIfLj2EEffffjfiS5_IjLj3EEiiiiiiiiiiiliiliiiiil,"axG",@progbits,_ZL15flash_attn_tileILi192ELi128ELi1ELi8ELb1EEvPKcS1_S1_S1_S1_PKiPfP15HIP_vector_typeIfLj2EEffffjfiS5_IjLj3EEiiiiiiiiiiiliiliiiiil,comdat
.Lfunc_end23:
	.size	_ZL15flash_attn_tileILi192ELi128ELi1ELi8ELb1EEvPKcS1_S1_S1_S1_PKiPfP15HIP_vector_typeIfLj2EEffffjfiS5_IjLj3EEiiiiiiiiiiiliiliiiiil, .Lfunc_end23-_ZL15flash_attn_tileILi192ELi128ELi1ELi8ELb1EEvPKcS1_S1_S1_S1_PKiPfP15HIP_vector_typeIfLj2EEffffjfiS5_IjLj3EEiiiiiiiiiiiliiliiiiil
                                        ; -- End function
	.set _ZL15flash_attn_tileILi192ELi128ELi1ELi8ELb1EEvPKcS1_S1_S1_S1_PKiPfP15HIP_vector_typeIfLj2EEffffjfiS5_IjLj3EEiiiiiiiiiiiliiliiiiil.num_vgpr, 113
	.set _ZL15flash_attn_tileILi192ELi128ELi1ELi8ELb1EEvPKcS1_S1_S1_S1_PKiPfP15HIP_vector_typeIfLj2EEffffjfiS5_IjLj3EEiiiiiiiiiiiliiliiiiil.num_agpr, 0
	.set _ZL15flash_attn_tileILi192ELi128ELi1ELi8ELb1EEvPKcS1_S1_S1_S1_PKiPfP15HIP_vector_typeIfLj2EEffffjfiS5_IjLj3EEiiiiiiiiiiiliiliiiiil.numbered_sgpr, 43
	.set _ZL15flash_attn_tileILi192ELi128ELi1ELi8ELb1EEvPKcS1_S1_S1_S1_PKiPfP15HIP_vector_typeIfLj2EEffffjfiS5_IjLj3EEiiiiiiiiiiiliiliiiiil.num_named_barrier, 0
	.set _ZL15flash_attn_tileILi192ELi128ELi1ELi8ELb1EEvPKcS1_S1_S1_S1_PKiPfP15HIP_vector_typeIfLj2EEffffjfiS5_IjLj3EEiiiiiiiiiiiliiliiiiil.private_seg_size, 0
	.set _ZL15flash_attn_tileILi192ELi128ELi1ELi8ELb1EEvPKcS1_S1_S1_S1_PKiPfP15HIP_vector_typeIfLj2EEffffjfiS5_IjLj3EEiiiiiiiiiiiliiliiiiil.uses_vcc, 1
	.set _ZL15flash_attn_tileILi192ELi128ELi1ELi8ELb1EEvPKcS1_S1_S1_S1_PKiPfP15HIP_vector_typeIfLj2EEffffjfiS5_IjLj3EEiiiiiiiiiiiliiliiiiil.uses_flat_scratch, 0
	.set _ZL15flash_attn_tileILi192ELi128ELi1ELi8ELb1EEvPKcS1_S1_S1_S1_PKiPfP15HIP_vector_typeIfLj2EEffffjfiS5_IjLj3EEiiiiiiiiiiiliiliiiiil.has_dyn_sized_stack, 0
	.set _ZL15flash_attn_tileILi192ELi128ELi1ELi8ELb1EEvPKcS1_S1_S1_S1_PKiPfP15HIP_vector_typeIfLj2EEffffjfiS5_IjLj3EEiiiiiiiiiiiliiliiiiil.has_recursion, 0
	.set _ZL15flash_attn_tileILi192ELi128ELi1ELi8ELb1EEvPKcS1_S1_S1_S1_PKiPfP15HIP_vector_typeIfLj2EEffffjfiS5_IjLj3EEiiiiiiiiiiiliiliiiiil.has_indirect_call, 0
	.section	.AMDGPU.csdata,"",@progbits
; Kernel info:
; codeLenInByte = 8476
; TotalNumSgprs: 45
; NumVgprs: 113
; ScratchSize: 0
; MemoryBound: 0
; FloatMode: 240
; IeeeMode: 1
; LDSByteSize: 8192 bytes/workgroup (compile time only)
; SGPRBlocks: 0
; VGPRBlocks: 7
; NumSGPRsForWavesPerEU: 45
; NumVGPRsForWavesPerEU: 113
; NamedBarCnt: 0
; Occupancy: 8
; WaveLimiterHint : 1
; COMPUTE_PGM_RSRC2:SCRATCH_EN: 0
; COMPUTE_PGM_RSRC2:USER_SGPR: 2
; COMPUTE_PGM_RSRC2:TRAP_HANDLER: 0
; COMPUTE_PGM_RSRC2:TGID_X_EN: 1
; COMPUTE_PGM_RSRC2:TGID_Y_EN: 1
; COMPUTE_PGM_RSRC2:TGID_Z_EN: 1
; COMPUTE_PGM_RSRC2:TIDIG_COMP_CNT: 1
	.section	.AMDGPU.gpr_maximums,"",@progbits
	.set amdgpu.max_num_vgpr, 0
	.set amdgpu.max_num_agpr, 0
	.set amdgpu.max_num_sgpr, 0
	.section	.AMDGPU.csdata,"",@progbits
	.type	__hip_cuid_76c2cf25b167d98,@object ; @__hip_cuid_76c2cf25b167d98
	.section	.bss,"aw",@nobits
	.globl	__hip_cuid_76c2cf25b167d98
__hip_cuid_76c2cf25b167d98:
	.byte	0                               ; 0x0
	.size	__hip_cuid_76c2cf25b167d98, 1

	.ident	"AMD clang version 22.0.0git (https://github.com/RadeonOpenCompute/llvm-project roc-7.2.4 26084 f58b06dce1f9c15707c5f808fd002e18c2accf7e)"
	.section	".note.GNU-stack","",@progbits
	.addrsig
	.addrsig_sym __hip_cuid_76c2cf25b167d98
	.amdgpu_metadata
---
amdhsa.kernels:
  - .args:
      - .address_space:  global
        .offset:         0
        .size:           8
        .value_kind:     global_buffer
      - .address_space:  global
        .offset:         8
        .size:           8
        .value_kind:     global_buffer
      - .address_space:  global
        .offset:         16
        .size:           8
        .value_kind:     global_buffer
      - .address_space:  global
        .offset:         24
        .size:           8
        .value_kind:     global_buffer
      - .address_space:  global
        .offset:         32
        .size:           8
        .value_kind:     global_buffer
      - .address_space:  global
        .offset:         40
        .size:           8
        .value_kind:     global_buffer
      - .address_space:  global
        .offset:         48
        .size:           8
        .value_kind:     global_buffer
      - .address_space:  global
        .offset:         56
        .size:           8
        .value_kind:     global_buffer
      - .offset:         64
        .size:           4
        .value_kind:     by_value
      - .offset:         68
        .size:           4
        .value_kind:     by_value
      - .offset:         72
        .size:           4
        .value_kind:     by_value
      - .offset:         76
        .size:           4
        .value_kind:     by_value
      - .offset:         80
        .size:           4
        .value_kind:     by_value
      - .offset:         84
        .size:           4
        .value_kind:     by_value
      - .offset:         88
        .size:           4
        .value_kind:     by_value
      - .offset:         92
        .size:           12
        .value_kind:     by_value
      - .offset:         104
        .size:           4
        .value_kind:     by_value
      - .offset:         108
        .size:           4
        .value_kind:     by_value
      - .offset:         112
        .size:           4
        .value_kind:     by_value
      - .offset:         116
        .size:           4
        .value_kind:     by_value
      - .offset:         120
        .size:           4
        .value_kind:     by_value
      - .offset:         124
        .size:           4
        .value_kind:     by_value
      - .offset:         128
        .size:           4
        .value_kind:     by_value
      - .offset:         132
        .size:           4
        .value_kind:     by_value
      - .offset:         136
        .size:           4
        .value_kind:     by_value
      - .offset:         140
        .size:           4
        .value_kind:     by_value
      - .offset:         144
        .size:           4
        .value_kind:     by_value
      - .offset:         152
        .size:           8
        .value_kind:     by_value
      - .offset:         160
        .size:           4
        .value_kind:     by_value
      - .offset:         164
        .size:           4
        .value_kind:     by_value
      - .offset:         168
        .size:           8
        .value_kind:     by_value
      - .offset:         176
        .size:           4
        .value_kind:     by_value
      - .offset:         180
        .size:           4
        .value_kind:     by_value
      - .offset:         184
        .size:           4
        .value_kind:     by_value
      - .offset:         188
        .size:           4
        .value_kind:     by_value
      - .offset:         192
        .size:           4
        .value_kind:     by_value
      - .offset:         200
        .size:           8
        .value_kind:     by_value
      - .offset:         208
        .size:           4
        .value_kind:     hidden_block_count_x
      - .offset:         212
        .size:           4
        .value_kind:     hidden_block_count_y
      - .offset:         216
        .size:           4
        .value_kind:     hidden_block_count_z
      - .offset:         220
        .size:           2
        .value_kind:     hidden_group_size_x
      - .offset:         222
        .size:           2
        .value_kind:     hidden_group_size_y
      - .offset:         224
        .size:           2
        .value_kind:     hidden_group_size_z
      - .offset:         226
        .size:           2
        .value_kind:     hidden_remainder_x
      - .offset:         228
        .size:           2
        .value_kind:     hidden_remainder_y
      - .offset:         230
        .size:           2
        .value_kind:     hidden_remainder_z
      - .offset:         248
        .size:           8
        .value_kind:     hidden_global_offset_x
      - .offset:         256
        .size:           8
        .value_kind:     hidden_global_offset_y
      - .offset:         264
        .size:           8
        .value_kind:     hidden_global_offset_z
      - .offset:         272
        .size:           2
        .value_kind:     hidden_grid_dims
    .group_segment_fixed_size: 25600
    .kernarg_segment_align: 8
    .kernarg_segment_size: 464
    .language:       OpenCL C
    .language_version:
      - 2
      - 0
    .max_flat_workgroup_size: 256
    .name:           _ZL15flash_attn_tileILi192ELi128ELi2ELi16ELb0EEvPKcS1_S1_S1_S1_PKiPfP15HIP_vector_typeIfLj2EEffffjfiS5_IjLj3EEiiiiiiiiiiiliiliiiiil
    .private_segment_fixed_size: 0
    .sgpr_count:     45
    .sgpr_spill_count: 0
    .symbol:         _ZL15flash_attn_tileILi192ELi128ELi2ELi16ELb0EEvPKcS1_S1_S1_S1_PKiPfP15HIP_vector_typeIfLj2EEffffjfiS5_IjLj3EEiiiiiiiiiiiliiliiiiil.kd
    .uniform_work_group_size: 1
    .uses_dynamic_stack: false
    .vgpr_count:     119
    .vgpr_spill_count: 0
    .wavefront_size: 32
  - .args:
      - .actual_access:  read_only
        .address_space:  global
        .offset:         0
        .size:           8
        .value_kind:     global_buffer
      - .actual_access:  write_only
        .address_space:  global
        .offset:         8
        .size:           8
        .value_kind:     global_buffer
      - .offset:         16
        .size:           4
        .value_kind:     by_value
      - .offset:         20
        .size:           4
        .value_kind:     by_value
      - .offset:         24
        .size:           4
        .value_kind:     by_value
      - .offset:         32
        .size:           4
        .value_kind:     hidden_block_count_x
      - .offset:         36
        .size:           4
        .value_kind:     hidden_block_count_y
      - .offset:         40
        .size:           4
        .value_kind:     hidden_block_count_z
      - .offset:         44
        .size:           2
        .value_kind:     hidden_group_size_x
      - .offset:         46
        .size:           2
        .value_kind:     hidden_group_size_y
      - .offset:         48
        .size:           2
        .value_kind:     hidden_group_size_z
      - .offset:         50
        .size:           2
        .value_kind:     hidden_remainder_x
      - .offset:         52
        .size:           2
        .value_kind:     hidden_remainder_y
      - .offset:         54
        .size:           2
        .value_kind:     hidden_remainder_z
      - .offset:         72
        .size:           8
        .value_kind:     hidden_global_offset_x
      - .offset:         80
        .size:           8
        .value_kind:     hidden_global_offset_y
      - .offset:         88
        .size:           8
        .value_kind:     hidden_global_offset_z
      - .offset:         96
        .size:           2
        .value_kind:     hidden_grid_dims
    .group_segment_fixed_size: 128
    .kernarg_segment_align: 8
    .kernarg_segment_size: 288
    .language:       OpenCL C
    .language_version:
      - 2
      - 0
    .max_flat_workgroup_size: 128
    .name:           _ZL25flash_attn_mask_to_KV_maxILi2EEvPK7__half2Piiii
    .private_segment_fixed_size: 0
    .sgpr_count:     17
    .sgpr_spill_count: 0
    .symbol:         _ZL25flash_attn_mask_to_KV_maxILi2EEvPK7__half2Piiii.kd
    .uniform_work_group_size: 1
    .uses_dynamic_stack: false
    .vgpr_count:     6
    .vgpr_spill_count: 0
    .wavefront_size: 32
  - .args:
      - .address_space:  global
        .offset:         0
        .size:           8
        .value_kind:     global_buffer
      - .address_space:  global
        .offset:         8
        .size:           8
        .value_kind:     global_buffer
      - .offset:         16
        .size:           4
        .value_kind:     by_value
      - .offset:         20
        .size:           4
        .value_kind:     by_value
      - .offset:         24
        .size:           4
        .value_kind:     by_value
      - .offset:         28
        .size:           4
        .value_kind:     by_value
      - .offset:         32
        .size:           4
        .value_kind:     by_value
      - .offset:         36
        .size:           4
        .value_kind:     by_value
      - .offset:         40
        .size:           12
        .value_kind:     by_value
      - .offset:         52
        .size:           12
        .value_kind:     by_value
      - .offset:         64
        .size:           12
        .value_kind:     by_value
    .group_segment_fixed_size: 0
    .kernarg_segment_align: 8
    .kernarg_segment_size: 76
    .language:       OpenCL C
    .language_version:
      - 2
      - 0
    .max_flat_workgroup_size: 128
    .name:           _ZL33flash_attn_stream_k_fixup_uniformILi128ELi2ELi16EEvPfPK15HIP_vector_typeIfLj2EEiiiiiiS1_IjLj3EES5_S5_
    .private_segment_fixed_size: 0
    .sgpr_count:     23
    .sgpr_spill_count: 0
    .symbol:         _ZL33flash_attn_stream_k_fixup_uniformILi128ELi2ELi16EEvPfPK15HIP_vector_typeIfLj2EEiiiiiiS1_IjLj3EES5_S5_.kd
    .uniform_work_group_size: 1
    .uses_dynamic_stack: false
    .vgpr_count:     12
    .vgpr_spill_count: 0
    .wavefront_size: 32
  - .args:
      - .address_space:  global
        .offset:         0
        .size:           8
        .value_kind:     global_buffer
      - .address_space:  global
        .offset:         8
        .size:           8
        .value_kind:     global_buffer
      - .offset:         16
        .size:           4
        .value_kind:     by_value
      - .offset:         20
        .size:           4
        .value_kind:     by_value
      - .offset:         24
        .size:           4
        .value_kind:     by_value
      - .offset:         28
        .size:           4
        .value_kind:     by_value
      - .offset:         32
        .size:           12
        .value_kind:     by_value
      - .offset:         44
        .size:           12
        .value_kind:     by_value
      - .offset:         56
        .size:           12
        .value_kind:     by_value
      - .offset:         68
        .size:           12
        .value_kind:     by_value
      - .offset:         80
        .size:           4
        .value_kind:     hidden_block_count_x
      - .offset:         84
        .size:           4
        .value_kind:     hidden_block_count_y
      - .offset:         88
        .size:           4
        .value_kind:     hidden_block_count_z
      - .offset:         92
        .size:           2
        .value_kind:     hidden_group_size_x
      - .offset:         94
        .size:           2
        .value_kind:     hidden_group_size_y
      - .offset:         96
        .size:           2
        .value_kind:     hidden_group_size_z
      - .offset:         98
        .size:           2
        .value_kind:     hidden_remainder_x
      - .offset:         100
        .size:           2
        .value_kind:     hidden_remainder_y
      - .offset:         102
        .size:           2
        .value_kind:     hidden_remainder_z
      - .offset:         120
        .size:           8
        .value_kind:     hidden_global_offset_x
      - .offset:         128
        .size:           8
        .value_kind:     hidden_global_offset_y
      - .offset:         136
        .size:           8
        .value_kind:     hidden_global_offset_z
      - .offset:         144
        .size:           2
        .value_kind:     hidden_grid_dims
    .group_segment_fixed_size: 0
    .kernarg_segment_align: 8
    .kernarg_segment_size: 336
    .language:       OpenCL C
    .language_version:
      - 2
      - 0
    .max_flat_workgroup_size: 128
    .name:           _ZL33flash_attn_stream_k_fixup_generalILi128ELi2ELi16EEvPfPK15HIP_vector_typeIfLj2EEiiiiS1_IjLj3EES5_S5_S5_
    .private_segment_fixed_size: 0
    .sgpr_count:     48
    .sgpr_spill_count: 0
    .symbol:         _ZL33flash_attn_stream_k_fixup_generalILi128ELi2ELi16EEvPfPK15HIP_vector_typeIfLj2EEiiiiS1_IjLj3EES5_S5_S5_.kd
    .uniform_work_group_size: 1
    .uses_dynamic_stack: false
    .vgpr_count:     12
    .vgpr_spill_count: 0
    .wavefront_size: 32
  - .args:
      - .address_space:  global
        .offset:         0
        .size:           8
        .value_kind:     global_buffer
      - .address_space:  global
        .offset:         8
        .size:           8
        .value_kind:     global_buffer
      - .address_space:  global
        .offset:         16
        .size:           8
        .value_kind:     global_buffer
      - .offset:         24
        .size:           4
        .value_kind:     by_value
      - .offset:         32
        .size:           4
        .value_kind:     hidden_block_count_x
      - .offset:         36
        .size:           4
        .value_kind:     hidden_block_count_y
      - .offset:         40
        .size:           4
        .value_kind:     hidden_block_count_z
      - .offset:         44
        .size:           2
        .value_kind:     hidden_group_size_x
      - .offset:         46
        .size:           2
        .value_kind:     hidden_group_size_y
      - .offset:         48
        .size:           2
        .value_kind:     hidden_group_size_z
      - .offset:         50
        .size:           2
        .value_kind:     hidden_remainder_x
      - .offset:         52
        .size:           2
        .value_kind:     hidden_remainder_y
      - .offset:         54
        .size:           2
        .value_kind:     hidden_remainder_z
      - .offset:         72
        .size:           8
        .value_kind:     hidden_global_offset_x
      - .offset:         80
        .size:           8
        .value_kind:     hidden_global_offset_y
      - .offset:         88
        .size:           8
        .value_kind:     hidden_global_offset_z
      - .offset:         96
        .size:           2
        .value_kind:     hidden_grid_dims
      - .offset:         152
        .size:           4
        .value_kind:     hidden_dynamic_lds_size
    .group_segment_fixed_size: 0
    .kernarg_segment_align: 8
    .kernarg_segment_size: 288
    .language:       OpenCL C
    .language_version:
      - 2
      - 0
    .max_flat_workgroup_size: 128
    .name:           _ZL26flash_attn_combine_resultsILi128EEvPKfPK15HIP_vector_typeIfLj2EEPfi
    .private_segment_fixed_size: 0
    .sgpr_count:     45
    .sgpr_spill_count: 0
    .symbol:         _ZL26flash_attn_combine_resultsILi128EEvPKfPK15HIP_vector_typeIfLj2EEPfi.kd
    .uniform_work_group_size: 1
    .uses_dynamic_stack: false
    .vgpr_count:     36
    .vgpr_spill_count: 0
    .wavefront_size: 32
  - .args:
      - .address_space:  global
        .offset:         0
        .size:           8
        .value_kind:     global_buffer
      - .address_space:  global
        .offset:         8
        .size:           8
        .value_kind:     global_buffer
      - .address_space:  global
        .offset:         16
        .size:           8
        .value_kind:     global_buffer
      - .address_space:  global
        .offset:         24
        .size:           8
        .value_kind:     global_buffer
      - .address_space:  global
        .offset:         32
        .size:           8
        .value_kind:     global_buffer
      - .address_space:  global
        .offset:         40
        .size:           8
        .value_kind:     global_buffer
      - .address_space:  global
        .offset:         48
        .size:           8
        .value_kind:     global_buffer
      - .address_space:  global
        .offset:         56
        .size:           8
        .value_kind:     global_buffer
      - .offset:         64
        .size:           4
        .value_kind:     by_value
      - .offset:         68
        .size:           4
        .value_kind:     by_value
      - .offset:         72
        .size:           4
        .value_kind:     by_value
      - .offset:         76
        .size:           4
        .value_kind:     by_value
      - .offset:         80
        .size:           4
        .value_kind:     by_value
      - .offset:         84
        .size:           4
        .value_kind:     by_value
      - .offset:         88
        .size:           4
        .value_kind:     by_value
      - .offset:         92
        .size:           12
        .value_kind:     by_value
      - .offset:         104
        .size:           4
        .value_kind:     by_value
      - .offset:         108
        .size:           4
        .value_kind:     by_value
      - .offset:         112
        .size:           4
        .value_kind:     by_value
      - .offset:         116
        .size:           4
        .value_kind:     by_value
      - .offset:         120
        .size:           4
        .value_kind:     by_value
      - .offset:         124
        .size:           4
        .value_kind:     by_value
      - .offset:         128
        .size:           4
        .value_kind:     by_value
      - .offset:         132
        .size:           4
        .value_kind:     by_value
      - .offset:         136
        .size:           4
        .value_kind:     by_value
      - .offset:         140
        .size:           4
        .value_kind:     by_value
      - .offset:         144
        .size:           4
        .value_kind:     by_value
      - .offset:         152
        .size:           8
        .value_kind:     by_value
      - .offset:         160
        .size:           4
        .value_kind:     by_value
      - .offset:         164
        .size:           4
        .value_kind:     by_value
      - .offset:         168
        .size:           8
        .value_kind:     by_value
      - .offset:         176
        .size:           4
        .value_kind:     by_value
      - .offset:         180
        .size:           4
        .value_kind:     by_value
      - .offset:         184
        .size:           4
        .value_kind:     by_value
      - .offset:         188
        .size:           4
        .value_kind:     by_value
      - .offset:         192
        .size:           4
        .value_kind:     by_value
      - .offset:         200
        .size:           8
        .value_kind:     by_value
      - .offset:         208
        .size:           4
        .value_kind:     hidden_block_count_x
      - .offset:         212
        .size:           4
        .value_kind:     hidden_block_count_y
      - .offset:         216
        .size:           4
        .value_kind:     hidden_block_count_z
      - .offset:         220
        .size:           2
        .value_kind:     hidden_group_size_x
      - .offset:         222
        .size:           2
        .value_kind:     hidden_group_size_y
      - .offset:         224
        .size:           2
        .value_kind:     hidden_group_size_z
      - .offset:         226
        .size:           2
        .value_kind:     hidden_remainder_x
      - .offset:         228
        .size:           2
        .value_kind:     hidden_remainder_y
      - .offset:         230
        .size:           2
        .value_kind:     hidden_remainder_z
      - .offset:         248
        .size:           8
        .value_kind:     hidden_global_offset_x
      - .offset:         256
        .size:           8
        .value_kind:     hidden_global_offset_y
      - .offset:         264
        .size:           8
        .value_kind:     hidden_global_offset_z
      - .offset:         272
        .size:           2
        .value_kind:     hidden_grid_dims
    .group_segment_fixed_size: 11776
    .kernarg_segment_align: 8
    .kernarg_segment_size: 464
    .language:       OpenCL C
    .language_version:
      - 2
      - 0
    .max_flat_workgroup_size: 256
    .name:           _ZL15flash_attn_tileILi192ELi128ELi1ELi16ELb0EEvPKcS1_S1_S1_S1_PKiPfP15HIP_vector_typeIfLj2EEffffjfiS5_IjLj3EEiiiiiiiiiiiliiliiiiil
    .private_segment_fixed_size: 0
    .sgpr_count:     45
    .sgpr_spill_count: 0
    .symbol:         _ZL15flash_attn_tileILi192ELi128ELi1ELi16ELb0EEvPKcS1_S1_S1_S1_PKiPfP15HIP_vector_typeIfLj2EEffffjfiS5_IjLj3EEiiiiiiiiiiiliiliiiiil.kd
    .uniform_work_group_size: 1
    .uses_dynamic_stack: false
    .vgpr_count:     74
    .vgpr_spill_count: 0
    .wavefront_size: 32
  - .args:
      - .actual_access:  read_only
        .address_space:  global
        .offset:         0
        .size:           8
        .value_kind:     global_buffer
      - .actual_access:  write_only
        .address_space:  global
        .offset:         8
        .size:           8
        .value_kind:     global_buffer
      - .offset:         16
        .size:           4
        .value_kind:     by_value
      - .offset:         20
        .size:           4
        .value_kind:     by_value
      - .offset:         24
        .size:           4
        .value_kind:     by_value
      - .offset:         32
        .size:           4
        .value_kind:     hidden_block_count_x
      - .offset:         36
        .size:           4
        .value_kind:     hidden_block_count_y
      - .offset:         40
        .size:           4
        .value_kind:     hidden_block_count_z
      - .offset:         44
        .size:           2
        .value_kind:     hidden_group_size_x
      - .offset:         46
        .size:           2
        .value_kind:     hidden_group_size_y
      - .offset:         48
        .size:           2
        .value_kind:     hidden_group_size_z
      - .offset:         50
        .size:           2
        .value_kind:     hidden_remainder_x
      - .offset:         52
        .size:           2
        .value_kind:     hidden_remainder_y
      - .offset:         54
        .size:           2
        .value_kind:     hidden_remainder_z
      - .offset:         72
        .size:           8
        .value_kind:     hidden_global_offset_x
      - .offset:         80
        .size:           8
        .value_kind:     hidden_global_offset_y
      - .offset:         88
        .size:           8
        .value_kind:     hidden_global_offset_z
      - .offset:         96
        .size:           2
        .value_kind:     hidden_grid_dims
    .group_segment_fixed_size: 128
    .kernarg_segment_align: 8
    .kernarg_segment_size: 288
    .language:       OpenCL C
    .language_version:
      - 2
      - 0
    .max_flat_workgroup_size: 128
    .name:           _ZL25flash_attn_mask_to_KV_maxILi1EEvPK7__half2Piiii
    .private_segment_fixed_size: 0
    .sgpr_count:     15
    .sgpr_spill_count: 0
    .symbol:         _ZL25flash_attn_mask_to_KV_maxILi1EEvPK7__half2Piiii.kd
    .uniform_work_group_size: 1
    .uses_dynamic_stack: false
    .vgpr_count:     5
    .vgpr_spill_count: 0
    .wavefront_size: 32
  - .args:
      - .address_space:  global
        .offset:         0
        .size:           8
        .value_kind:     global_buffer
      - .address_space:  global
        .offset:         8
        .size:           8
        .value_kind:     global_buffer
      - .offset:         16
        .size:           4
        .value_kind:     by_value
      - .offset:         20
        .size:           4
        .value_kind:     by_value
      - .offset:         24
        .size:           4
        .value_kind:     by_value
      - .offset:         28
        .size:           4
        .value_kind:     by_value
      - .offset:         32
        .size:           4
        .value_kind:     by_value
      - .offset:         36
        .size:           4
        .value_kind:     by_value
      - .offset:         40
        .size:           12
        .value_kind:     by_value
      - .offset:         52
        .size:           12
        .value_kind:     by_value
      - .offset:         64
        .size:           12
        .value_kind:     by_value
    .group_segment_fixed_size: 0
    .kernarg_segment_align: 8
    .kernarg_segment_size: 76
    .language:       OpenCL C
    .language_version:
      - 2
      - 0
    .max_flat_workgroup_size: 128
    .name:           _ZL33flash_attn_stream_k_fixup_uniformILi128ELi1ELi16EEvPfPK15HIP_vector_typeIfLj2EEiiiiiiS1_IjLj3EES5_S5_
    .private_segment_fixed_size: 0
    .sgpr_count:     23
    .sgpr_spill_count: 0
    .symbol:         _ZL33flash_attn_stream_k_fixup_uniformILi128ELi1ELi16EEvPfPK15HIP_vector_typeIfLj2EEiiiiiiS1_IjLj3EES5_S5_.kd
    .uniform_work_group_size: 1
    .uses_dynamic_stack: false
    .vgpr_count:     12
    .vgpr_spill_count: 0
    .wavefront_size: 32
  - .args:
      - .address_space:  global
        .offset:         0
        .size:           8
        .value_kind:     global_buffer
      - .address_space:  global
        .offset:         8
        .size:           8
        .value_kind:     global_buffer
      - .offset:         16
        .size:           4
        .value_kind:     by_value
      - .offset:         20
        .size:           4
        .value_kind:     by_value
      - .offset:         24
        .size:           4
        .value_kind:     by_value
      - .offset:         28
        .size:           4
        .value_kind:     by_value
      - .offset:         32
        .size:           12
        .value_kind:     by_value
      - .offset:         44
        .size:           12
        .value_kind:     by_value
      - .offset:         56
        .size:           12
        .value_kind:     by_value
      - .offset:         68
        .size:           12
        .value_kind:     by_value
      - .offset:         80
        .size:           4
        .value_kind:     hidden_block_count_x
      - .offset:         84
        .size:           4
        .value_kind:     hidden_block_count_y
      - .offset:         88
        .size:           4
        .value_kind:     hidden_block_count_z
      - .offset:         92
        .size:           2
        .value_kind:     hidden_group_size_x
      - .offset:         94
        .size:           2
        .value_kind:     hidden_group_size_y
      - .offset:         96
        .size:           2
        .value_kind:     hidden_group_size_z
      - .offset:         98
        .size:           2
        .value_kind:     hidden_remainder_x
      - .offset:         100
        .size:           2
        .value_kind:     hidden_remainder_y
      - .offset:         102
        .size:           2
        .value_kind:     hidden_remainder_z
      - .offset:         120
        .size:           8
        .value_kind:     hidden_global_offset_x
      - .offset:         128
        .size:           8
        .value_kind:     hidden_global_offset_y
      - .offset:         136
        .size:           8
        .value_kind:     hidden_global_offset_z
      - .offset:         144
        .size:           2
        .value_kind:     hidden_grid_dims
    .group_segment_fixed_size: 0
    .kernarg_segment_align: 8
    .kernarg_segment_size: 336
    .language:       OpenCL C
    .language_version:
      - 2
      - 0
    .max_flat_workgroup_size: 128
    .name:           _ZL33flash_attn_stream_k_fixup_generalILi128ELi1ELi16EEvPfPK15HIP_vector_typeIfLj2EEiiiiS1_IjLj3EES5_S5_S5_
    .private_segment_fixed_size: 0
    .sgpr_count:     48
    .sgpr_spill_count: 0
    .symbol:         _ZL33flash_attn_stream_k_fixup_generalILi128ELi1ELi16EEvPfPK15HIP_vector_typeIfLj2EEiiiiS1_IjLj3EES5_S5_S5_.kd
    .uniform_work_group_size: 1
    .uses_dynamic_stack: false
    .vgpr_count:     12
    .vgpr_spill_count: 0
    .wavefront_size: 32
  - .args:
      - .address_space:  global
        .offset:         0
        .size:           8
        .value_kind:     global_buffer
      - .address_space:  global
        .offset:         8
        .size:           8
        .value_kind:     global_buffer
      - .address_space:  global
        .offset:         16
        .size:           8
        .value_kind:     global_buffer
      - .address_space:  global
        .offset:         24
        .size:           8
        .value_kind:     global_buffer
      - .address_space:  global
        .offset:         32
        .size:           8
        .value_kind:     global_buffer
      - .address_space:  global
        .offset:         40
        .size:           8
        .value_kind:     global_buffer
      - .address_space:  global
        .offset:         48
        .size:           8
        .value_kind:     global_buffer
      - .address_space:  global
        .offset:         56
        .size:           8
        .value_kind:     global_buffer
      - .offset:         64
        .size:           4
        .value_kind:     by_value
      - .offset:         68
        .size:           4
        .value_kind:     by_value
      - .offset:         72
        .size:           4
        .value_kind:     by_value
      - .offset:         76
        .size:           4
        .value_kind:     by_value
      - .offset:         80
        .size:           4
        .value_kind:     by_value
      - .offset:         84
        .size:           4
        .value_kind:     by_value
      - .offset:         88
        .size:           4
        .value_kind:     by_value
      - .offset:         92
        .size:           12
        .value_kind:     by_value
      - .offset:         104
        .size:           4
        .value_kind:     by_value
      - .offset:         108
        .size:           4
        .value_kind:     by_value
      - .offset:         112
        .size:           4
        .value_kind:     by_value
      - .offset:         116
        .size:           4
        .value_kind:     by_value
      - .offset:         120
        .size:           4
        .value_kind:     by_value
      - .offset:         124
        .size:           4
        .value_kind:     by_value
      - .offset:         128
        .size:           4
        .value_kind:     by_value
      - .offset:         132
        .size:           4
        .value_kind:     by_value
      - .offset:         136
        .size:           4
        .value_kind:     by_value
      - .offset:         140
        .size:           4
        .value_kind:     by_value
      - .offset:         144
        .size:           4
        .value_kind:     by_value
      - .offset:         152
        .size:           8
        .value_kind:     by_value
      - .offset:         160
        .size:           4
        .value_kind:     by_value
      - .offset:         164
        .size:           4
        .value_kind:     by_value
      - .offset:         168
        .size:           8
        .value_kind:     by_value
      - .offset:         176
        .size:           4
        .value_kind:     by_value
      - .offset:         180
        .size:           4
        .value_kind:     by_value
      - .offset:         184
        .size:           4
        .value_kind:     by_value
      - .offset:         188
        .size:           4
        .value_kind:     by_value
      - .offset:         192
        .size:           4
        .value_kind:     by_value
      - .offset:         200
        .size:           8
        .value_kind:     by_value
      - .offset:         208
        .size:           4
        .value_kind:     hidden_block_count_x
      - .offset:         212
        .size:           4
        .value_kind:     hidden_block_count_y
      - .offset:         216
        .size:           4
        .value_kind:     hidden_block_count_z
      - .offset:         220
        .size:           2
        .value_kind:     hidden_group_size_x
      - .offset:         222
        .size:           2
        .value_kind:     hidden_group_size_y
      - .offset:         224
        .size:           2
        .value_kind:     hidden_group_size_z
      - .offset:         226
        .size:           2
        .value_kind:     hidden_remainder_x
      - .offset:         228
        .size:           2
        .value_kind:     hidden_remainder_y
      - .offset:         230
        .size:           2
        .value_kind:     hidden_remainder_z
      - .offset:         248
        .size:           8
        .value_kind:     hidden_global_offset_x
      - .offset:         256
        .size:           8
        .value_kind:     hidden_global_offset_y
      - .offset:         264
        .size:           8
        .value_kind:     hidden_global_offset_z
      - .offset:         272
        .size:           2
        .value_kind:     hidden_grid_dims
    .group_segment_fixed_size: 25600
    .kernarg_segment_align: 8
    .kernarg_segment_size: 464
    .language:       OpenCL C
    .language_version:
      - 2
      - 0
    .max_flat_workgroup_size: 256
    .name:           _ZL15flash_attn_tileILi192ELi128ELi4ELi8ELb0EEvPKcS1_S1_S1_S1_PKiPfP15HIP_vector_typeIfLj2EEffffjfiS5_IjLj3EEiiiiiiiiiiiliiliiiiil
    .private_segment_fixed_size: 0
    .sgpr_count:     45
    .sgpr_spill_count: 0
    .symbol:         _ZL15flash_attn_tileILi192ELi128ELi4ELi8ELb0EEvPKcS1_S1_S1_S1_PKiPfP15HIP_vector_typeIfLj2EEffffjfiS5_IjLj3EEiiiiiiiiiiiliiliiiiil.kd
    .uniform_work_group_size: 1
    .uses_dynamic_stack: false
    .vgpr_count:     119
    .vgpr_spill_count: 0
    .wavefront_size: 32
  - .args:
      - .actual_access:  read_only
        .address_space:  global
        .offset:         0
        .size:           8
        .value_kind:     global_buffer
      - .actual_access:  write_only
        .address_space:  global
        .offset:         8
        .size:           8
        .value_kind:     global_buffer
      - .offset:         16
        .size:           4
        .value_kind:     by_value
      - .offset:         20
        .size:           4
        .value_kind:     by_value
      - .offset:         24
        .size:           4
        .value_kind:     by_value
      - .offset:         32
        .size:           4
        .value_kind:     hidden_block_count_x
      - .offset:         36
        .size:           4
        .value_kind:     hidden_block_count_y
      - .offset:         40
        .size:           4
        .value_kind:     hidden_block_count_z
      - .offset:         44
        .size:           2
        .value_kind:     hidden_group_size_x
      - .offset:         46
        .size:           2
        .value_kind:     hidden_group_size_y
      - .offset:         48
        .size:           2
        .value_kind:     hidden_group_size_z
      - .offset:         50
        .size:           2
        .value_kind:     hidden_remainder_x
      - .offset:         52
        .size:           2
        .value_kind:     hidden_remainder_y
      - .offset:         54
        .size:           2
        .value_kind:     hidden_remainder_z
      - .offset:         72
        .size:           8
        .value_kind:     hidden_global_offset_x
      - .offset:         80
        .size:           8
        .value_kind:     hidden_global_offset_y
      - .offset:         88
        .size:           8
        .value_kind:     hidden_global_offset_z
      - .offset:         96
        .size:           2
        .value_kind:     hidden_grid_dims
    .group_segment_fixed_size: 128
    .kernarg_segment_align: 8
    .kernarg_segment_size: 288
    .language:       OpenCL C
    .language_version:
      - 2
      - 0
    .max_flat_workgroup_size: 128
    .name:           _ZL25flash_attn_mask_to_KV_maxILi4EEvPK7__half2Piiii
    .private_segment_fixed_size: 0
    .sgpr_count:     21
    .sgpr_spill_count: 0
    .symbol:         _ZL25flash_attn_mask_to_KV_maxILi4EEvPK7__half2Piiii.kd
    .uniform_work_group_size: 1
    .uses_dynamic_stack: false
    .vgpr_count:     6
    .vgpr_spill_count: 0
    .wavefront_size: 32
  - .args:
      - .address_space:  global
        .offset:         0
        .size:           8
        .value_kind:     global_buffer
      - .address_space:  global
        .offset:         8
        .size:           8
        .value_kind:     global_buffer
      - .offset:         16
        .size:           4
        .value_kind:     by_value
      - .offset:         20
        .size:           4
        .value_kind:     by_value
      - .offset:         24
        .size:           4
        .value_kind:     by_value
      - .offset:         28
        .size:           4
        .value_kind:     by_value
      - .offset:         32
        .size:           4
        .value_kind:     by_value
      - .offset:         36
        .size:           4
        .value_kind:     by_value
      - .offset:         40
        .size:           12
        .value_kind:     by_value
      - .offset:         52
        .size:           12
        .value_kind:     by_value
      - .offset:         64
        .size:           12
        .value_kind:     by_value
    .group_segment_fixed_size: 0
    .kernarg_segment_align: 8
    .kernarg_segment_size: 76
    .language:       OpenCL C
    .language_version:
      - 2
      - 0
    .max_flat_workgroup_size: 128
    .name:           _ZL33flash_attn_stream_k_fixup_uniformILi128ELi4ELi8EEvPfPK15HIP_vector_typeIfLj2EEiiiiiiS1_IjLj3EES5_S5_
    .private_segment_fixed_size: 0
    .sgpr_count:     23
    .sgpr_spill_count: 0
    .symbol:         _ZL33flash_attn_stream_k_fixup_uniformILi128ELi4ELi8EEvPfPK15HIP_vector_typeIfLj2EEiiiiiiS1_IjLj3EES5_S5_.kd
    .uniform_work_group_size: 1
    .uses_dynamic_stack: false
    .vgpr_count:     12
    .vgpr_spill_count: 0
    .wavefront_size: 32
  - .args:
      - .address_space:  global
        .offset:         0
        .size:           8
        .value_kind:     global_buffer
      - .address_space:  global
        .offset:         8
        .size:           8
        .value_kind:     global_buffer
      - .offset:         16
        .size:           4
        .value_kind:     by_value
      - .offset:         20
        .size:           4
        .value_kind:     by_value
      - .offset:         24
        .size:           4
        .value_kind:     by_value
      - .offset:         28
        .size:           4
        .value_kind:     by_value
      - .offset:         32
        .size:           12
        .value_kind:     by_value
      - .offset:         44
        .size:           12
        .value_kind:     by_value
      - .offset:         56
        .size:           12
        .value_kind:     by_value
      - .offset:         68
        .size:           12
        .value_kind:     by_value
      - .offset:         80
        .size:           4
        .value_kind:     hidden_block_count_x
      - .offset:         84
        .size:           4
        .value_kind:     hidden_block_count_y
      - .offset:         88
        .size:           4
        .value_kind:     hidden_block_count_z
      - .offset:         92
        .size:           2
        .value_kind:     hidden_group_size_x
      - .offset:         94
        .size:           2
        .value_kind:     hidden_group_size_y
      - .offset:         96
        .size:           2
        .value_kind:     hidden_group_size_z
      - .offset:         98
        .size:           2
        .value_kind:     hidden_remainder_x
      - .offset:         100
        .size:           2
        .value_kind:     hidden_remainder_y
      - .offset:         102
        .size:           2
        .value_kind:     hidden_remainder_z
      - .offset:         120
        .size:           8
        .value_kind:     hidden_global_offset_x
      - .offset:         128
        .size:           8
        .value_kind:     hidden_global_offset_y
      - .offset:         136
        .size:           8
        .value_kind:     hidden_global_offset_z
      - .offset:         144
        .size:           2
        .value_kind:     hidden_grid_dims
    .group_segment_fixed_size: 0
    .kernarg_segment_align: 8
    .kernarg_segment_size: 336
    .language:       OpenCL C
    .language_version:
      - 2
      - 0
    .max_flat_workgroup_size: 128
    .name:           _ZL33flash_attn_stream_k_fixup_generalILi128ELi4ELi8EEvPfPK15HIP_vector_typeIfLj2EEiiiiS1_IjLj3EES5_S5_S5_
    .private_segment_fixed_size: 0
    .sgpr_count:     48
    .sgpr_spill_count: 0
    .symbol:         _ZL33flash_attn_stream_k_fixup_generalILi128ELi4ELi8EEvPfPK15HIP_vector_typeIfLj2EEiiiiS1_IjLj3EES5_S5_S5_.kd
    .uniform_work_group_size: 1
    .uses_dynamic_stack: false
    .vgpr_count:     12
    .vgpr_spill_count: 0
    .wavefront_size: 32
  - .args:
      - .address_space:  global
        .offset:         0
        .size:           8
        .value_kind:     global_buffer
      - .address_space:  global
        .offset:         8
        .size:           8
        .value_kind:     global_buffer
      - .address_space:  global
        .offset:         16
        .size:           8
        .value_kind:     global_buffer
      - .address_space:  global
        .offset:         24
        .size:           8
        .value_kind:     global_buffer
      - .address_space:  global
        .offset:         32
        .size:           8
        .value_kind:     global_buffer
      - .address_space:  global
        .offset:         40
        .size:           8
        .value_kind:     global_buffer
      - .address_space:  global
        .offset:         48
        .size:           8
        .value_kind:     global_buffer
      - .address_space:  global
        .offset:         56
        .size:           8
        .value_kind:     global_buffer
      - .offset:         64
        .size:           4
        .value_kind:     by_value
      - .offset:         68
        .size:           4
        .value_kind:     by_value
      - .offset:         72
        .size:           4
        .value_kind:     by_value
      - .offset:         76
        .size:           4
        .value_kind:     by_value
      - .offset:         80
        .size:           4
        .value_kind:     by_value
      - .offset:         84
        .size:           4
        .value_kind:     by_value
      - .offset:         88
        .size:           4
        .value_kind:     by_value
      - .offset:         92
        .size:           12
        .value_kind:     by_value
      - .offset:         104
        .size:           4
        .value_kind:     by_value
      - .offset:         108
        .size:           4
        .value_kind:     by_value
      - .offset:         112
        .size:           4
        .value_kind:     by_value
      - .offset:         116
        .size:           4
        .value_kind:     by_value
      - .offset:         120
        .size:           4
        .value_kind:     by_value
      - .offset:         124
        .size:           4
        .value_kind:     by_value
      - .offset:         128
        .size:           4
        .value_kind:     by_value
      - .offset:         132
        .size:           4
        .value_kind:     by_value
      - .offset:         136
        .size:           4
        .value_kind:     by_value
      - .offset:         140
        .size:           4
        .value_kind:     by_value
      - .offset:         144
        .size:           4
        .value_kind:     by_value
      - .offset:         152
        .size:           8
        .value_kind:     by_value
      - .offset:         160
        .size:           4
        .value_kind:     by_value
      - .offset:         164
        .size:           4
        .value_kind:     by_value
      - .offset:         168
        .size:           8
        .value_kind:     by_value
      - .offset:         176
        .size:           4
        .value_kind:     by_value
      - .offset:         180
        .size:           4
        .value_kind:     by_value
      - .offset:         184
        .size:           4
        .value_kind:     by_value
      - .offset:         188
        .size:           4
        .value_kind:     by_value
      - .offset:         192
        .size:           4
        .value_kind:     by_value
      - .offset:         200
        .size:           8
        .value_kind:     by_value
      - .offset:         208
        .size:           4
        .value_kind:     hidden_block_count_x
      - .offset:         212
        .size:           4
        .value_kind:     hidden_block_count_y
      - .offset:         216
        .size:           4
        .value_kind:     hidden_block_count_z
      - .offset:         220
        .size:           2
        .value_kind:     hidden_group_size_x
      - .offset:         222
        .size:           2
        .value_kind:     hidden_group_size_y
      - .offset:         224
        .size:           2
        .value_kind:     hidden_group_size_z
      - .offset:         226
        .size:           2
        .value_kind:     hidden_remainder_x
      - .offset:         228
        .size:           2
        .value_kind:     hidden_remainder_y
      - .offset:         230
        .size:           2
        .value_kind:     hidden_remainder_z
      - .offset:         248
        .size:           8
        .value_kind:     hidden_global_offset_x
      - .offset:         256
        .size:           8
        .value_kind:     hidden_global_offset_y
      - .offset:         264
        .size:           8
        .value_kind:     hidden_global_offset_z
      - .offset:         272
        .size:           2
        .value_kind:     hidden_grid_dims
    .group_segment_fixed_size: 11776
    .kernarg_segment_align: 8
    .kernarg_segment_size: 464
    .language:       OpenCL C
    .language_version:
      - 2
      - 0
    .max_flat_workgroup_size: 256
    .name:           _ZL15flash_attn_tileILi192ELi128ELi2ELi8ELb0EEvPKcS1_S1_S1_S1_PKiPfP15HIP_vector_typeIfLj2EEffffjfiS5_IjLj3EEiiiiiiiiiiiliiliiiiil
    .private_segment_fixed_size: 0
    .sgpr_count:     45
    .sgpr_spill_count: 0
    .symbol:         _ZL15flash_attn_tileILi192ELi128ELi2ELi8ELb0EEvPKcS1_S1_S1_S1_PKiPfP15HIP_vector_typeIfLj2EEffffjfiS5_IjLj3EEiiiiiiiiiiiliiliiiiil.kd
    .uniform_work_group_size: 1
    .uses_dynamic_stack: false
    .vgpr_count:     74
    .vgpr_spill_count: 0
    .wavefront_size: 32
  - .args:
      - .address_space:  global
        .offset:         0
        .size:           8
        .value_kind:     global_buffer
      - .address_space:  global
        .offset:         8
        .size:           8
        .value_kind:     global_buffer
      - .offset:         16
        .size:           4
        .value_kind:     by_value
      - .offset:         20
        .size:           4
        .value_kind:     by_value
      - .offset:         24
        .size:           4
        .value_kind:     by_value
      - .offset:         28
        .size:           4
        .value_kind:     by_value
      - .offset:         32
        .size:           4
        .value_kind:     by_value
      - .offset:         36
        .size:           4
        .value_kind:     by_value
      - .offset:         40
        .size:           12
        .value_kind:     by_value
      - .offset:         52
        .size:           12
        .value_kind:     by_value
      - .offset:         64
        .size:           12
        .value_kind:     by_value
    .group_segment_fixed_size: 0
    .kernarg_segment_align: 8
    .kernarg_segment_size: 76
    .language:       OpenCL C
    .language_version:
      - 2
      - 0
    .max_flat_workgroup_size: 128
    .name:           _ZL33flash_attn_stream_k_fixup_uniformILi128ELi2ELi8EEvPfPK15HIP_vector_typeIfLj2EEiiiiiiS1_IjLj3EES5_S5_
    .private_segment_fixed_size: 0
    .sgpr_count:     23
    .sgpr_spill_count: 0
    .symbol:         _ZL33flash_attn_stream_k_fixup_uniformILi128ELi2ELi8EEvPfPK15HIP_vector_typeIfLj2EEiiiiiiS1_IjLj3EES5_S5_.kd
    .uniform_work_group_size: 1
    .uses_dynamic_stack: false
    .vgpr_count:     12
    .vgpr_spill_count: 0
    .wavefront_size: 32
  - .args:
      - .address_space:  global
        .offset:         0
        .size:           8
        .value_kind:     global_buffer
      - .address_space:  global
        .offset:         8
        .size:           8
        .value_kind:     global_buffer
      - .offset:         16
        .size:           4
        .value_kind:     by_value
      - .offset:         20
        .size:           4
        .value_kind:     by_value
      - .offset:         24
        .size:           4
        .value_kind:     by_value
      - .offset:         28
        .size:           4
        .value_kind:     by_value
      - .offset:         32
        .size:           12
        .value_kind:     by_value
      - .offset:         44
        .size:           12
        .value_kind:     by_value
      - .offset:         56
        .size:           12
        .value_kind:     by_value
      - .offset:         68
        .size:           12
        .value_kind:     by_value
      - .offset:         80
        .size:           4
        .value_kind:     hidden_block_count_x
      - .offset:         84
        .size:           4
        .value_kind:     hidden_block_count_y
      - .offset:         88
        .size:           4
        .value_kind:     hidden_block_count_z
      - .offset:         92
        .size:           2
        .value_kind:     hidden_group_size_x
      - .offset:         94
        .size:           2
        .value_kind:     hidden_group_size_y
      - .offset:         96
        .size:           2
        .value_kind:     hidden_group_size_z
      - .offset:         98
        .size:           2
        .value_kind:     hidden_remainder_x
      - .offset:         100
        .size:           2
        .value_kind:     hidden_remainder_y
      - .offset:         102
        .size:           2
        .value_kind:     hidden_remainder_z
      - .offset:         120
        .size:           8
        .value_kind:     hidden_global_offset_x
      - .offset:         128
        .size:           8
        .value_kind:     hidden_global_offset_y
      - .offset:         136
        .size:           8
        .value_kind:     hidden_global_offset_z
      - .offset:         144
        .size:           2
        .value_kind:     hidden_grid_dims
    .group_segment_fixed_size: 0
    .kernarg_segment_align: 8
    .kernarg_segment_size: 336
    .language:       OpenCL C
    .language_version:
      - 2
      - 0
    .max_flat_workgroup_size: 128
    .name:           _ZL33flash_attn_stream_k_fixup_generalILi128ELi2ELi8EEvPfPK15HIP_vector_typeIfLj2EEiiiiS1_IjLj3EES5_S5_S5_
    .private_segment_fixed_size: 0
    .sgpr_count:     48
    .sgpr_spill_count: 0
    .symbol:         _ZL33flash_attn_stream_k_fixup_generalILi128ELi2ELi8EEvPfPK15HIP_vector_typeIfLj2EEiiiiS1_IjLj3EES5_S5_S5_.kd
    .uniform_work_group_size: 1
    .uses_dynamic_stack: false
    .vgpr_count:     12
    .vgpr_spill_count: 0
    .wavefront_size: 32
  - .args:
      - .address_space:  global
        .offset:         0
        .size:           8
        .value_kind:     global_buffer
      - .address_space:  global
        .offset:         8
        .size:           8
        .value_kind:     global_buffer
      - .address_space:  global
        .offset:         16
        .size:           8
        .value_kind:     global_buffer
      - .address_space:  global
        .offset:         24
        .size:           8
        .value_kind:     global_buffer
      - .address_space:  global
        .offset:         32
        .size:           8
        .value_kind:     global_buffer
      - .address_space:  global
        .offset:         40
        .size:           8
        .value_kind:     global_buffer
      - .address_space:  global
        .offset:         48
        .size:           8
        .value_kind:     global_buffer
      - .address_space:  global
        .offset:         56
        .size:           8
        .value_kind:     global_buffer
      - .offset:         64
        .size:           4
        .value_kind:     by_value
      - .offset:         68
        .size:           4
        .value_kind:     by_value
      - .offset:         72
        .size:           4
        .value_kind:     by_value
      - .offset:         76
        .size:           4
        .value_kind:     by_value
      - .offset:         80
        .size:           4
        .value_kind:     by_value
      - .offset:         84
        .size:           4
        .value_kind:     by_value
      - .offset:         88
        .size:           4
        .value_kind:     by_value
      - .offset:         92
        .size:           12
        .value_kind:     by_value
      - .offset:         104
        .size:           4
        .value_kind:     by_value
      - .offset:         108
        .size:           4
        .value_kind:     by_value
      - .offset:         112
        .size:           4
        .value_kind:     by_value
      - .offset:         116
        .size:           4
        .value_kind:     by_value
      - .offset:         120
        .size:           4
        .value_kind:     by_value
      - .offset:         124
        .size:           4
        .value_kind:     by_value
      - .offset:         128
        .size:           4
        .value_kind:     by_value
      - .offset:         132
        .size:           4
        .value_kind:     by_value
      - .offset:         136
        .size:           4
        .value_kind:     by_value
      - .offset:         140
        .size:           4
        .value_kind:     by_value
      - .offset:         144
        .size:           4
        .value_kind:     by_value
      - .offset:         152
        .size:           8
        .value_kind:     by_value
      - .offset:         160
        .size:           4
        .value_kind:     by_value
      - .offset:         164
        .size:           4
        .value_kind:     by_value
      - .offset:         168
        .size:           8
        .value_kind:     by_value
      - .offset:         176
        .size:           4
        .value_kind:     by_value
      - .offset:         180
        .size:           4
        .value_kind:     by_value
      - .offset:         184
        .size:           4
        .value_kind:     by_value
      - .offset:         188
        .size:           4
        .value_kind:     by_value
      - .offset:         192
        .size:           4
        .value_kind:     by_value
      - .offset:         200
        .size:           8
        .value_kind:     by_value
      - .offset:         208
        .size:           4
        .value_kind:     hidden_block_count_x
      - .offset:         212
        .size:           4
        .value_kind:     hidden_block_count_y
      - .offset:         216
        .size:           4
        .value_kind:     hidden_block_count_z
      - .offset:         220
        .size:           2
        .value_kind:     hidden_group_size_x
      - .offset:         222
        .size:           2
        .value_kind:     hidden_group_size_y
      - .offset:         224
        .size:           2
        .value_kind:     hidden_group_size_z
      - .offset:         226
        .size:           2
        .value_kind:     hidden_remainder_x
      - .offset:         228
        .size:           2
        .value_kind:     hidden_remainder_y
      - .offset:         230
        .size:           2
        .value_kind:     hidden_remainder_z
      - .offset:         248
        .size:           8
        .value_kind:     hidden_global_offset_x
      - .offset:         256
        .size:           8
        .value_kind:     hidden_global_offset_y
      - .offset:         264
        .size:           8
        .value_kind:     hidden_global_offset_z
      - .offset:         272
        .size:           2
        .value_kind:     hidden_grid_dims
    .group_segment_fixed_size: 8192
    .kernarg_segment_align: 8
    .kernarg_segment_size: 464
    .language:       OpenCL C
    .language_version:
      - 2
      - 0
    .max_flat_workgroup_size: 128
    .name:           _ZL15flash_attn_tileILi192ELi128ELi1ELi8ELb0EEvPKcS1_S1_S1_S1_PKiPfP15HIP_vector_typeIfLj2EEffffjfiS5_IjLj3EEiiiiiiiiiiiliiliiiiil
    .private_segment_fixed_size: 0
    .sgpr_count:     45
    .sgpr_spill_count: 0
    .symbol:         _ZL15flash_attn_tileILi192ELi128ELi1ELi8ELb0EEvPKcS1_S1_S1_S1_PKiPfP15HIP_vector_typeIfLj2EEffffjfiS5_IjLj3EEiiiiiiiiiiiliiliiiiil.kd
    .uniform_work_group_size: 1
    .uses_dynamic_stack: false
    .vgpr_count:     70
    .vgpr_spill_count: 0
    .wavefront_size: 32
  - .args:
      - .address_space:  global
        .offset:         0
        .size:           8
        .value_kind:     global_buffer
      - .address_space:  global
        .offset:         8
        .size:           8
        .value_kind:     global_buffer
      - .offset:         16
        .size:           4
        .value_kind:     by_value
      - .offset:         20
        .size:           4
        .value_kind:     by_value
      - .offset:         24
        .size:           4
        .value_kind:     by_value
      - .offset:         28
        .size:           4
        .value_kind:     by_value
      - .offset:         32
        .size:           4
        .value_kind:     by_value
      - .offset:         36
        .size:           4
        .value_kind:     by_value
      - .offset:         40
        .size:           12
        .value_kind:     by_value
      - .offset:         52
        .size:           12
        .value_kind:     by_value
      - .offset:         64
        .size:           12
        .value_kind:     by_value
    .group_segment_fixed_size: 0
    .kernarg_segment_align: 8
    .kernarg_segment_size: 76
    .language:       OpenCL C
    .language_version:
      - 2
      - 0
    .max_flat_workgroup_size: 128
    .name:           _ZL33flash_attn_stream_k_fixup_uniformILi128ELi1ELi8EEvPfPK15HIP_vector_typeIfLj2EEiiiiiiS1_IjLj3EES5_S5_
    .private_segment_fixed_size: 0
    .sgpr_count:     23
    .sgpr_spill_count: 0
    .symbol:         _ZL33flash_attn_stream_k_fixup_uniformILi128ELi1ELi8EEvPfPK15HIP_vector_typeIfLj2EEiiiiiiS1_IjLj3EES5_S5_.kd
    .uniform_work_group_size: 1
    .uses_dynamic_stack: false
    .vgpr_count:     12
    .vgpr_spill_count: 0
    .wavefront_size: 32
  - .args:
      - .address_space:  global
        .offset:         0
        .size:           8
        .value_kind:     global_buffer
      - .address_space:  global
        .offset:         8
        .size:           8
        .value_kind:     global_buffer
      - .offset:         16
        .size:           4
        .value_kind:     by_value
      - .offset:         20
        .size:           4
        .value_kind:     by_value
      - .offset:         24
        .size:           4
        .value_kind:     by_value
      - .offset:         28
        .size:           4
        .value_kind:     by_value
      - .offset:         32
        .size:           12
        .value_kind:     by_value
      - .offset:         44
        .size:           12
        .value_kind:     by_value
      - .offset:         56
        .size:           12
        .value_kind:     by_value
      - .offset:         68
        .size:           12
        .value_kind:     by_value
      - .offset:         80
        .size:           4
        .value_kind:     hidden_block_count_x
      - .offset:         84
        .size:           4
        .value_kind:     hidden_block_count_y
      - .offset:         88
        .size:           4
        .value_kind:     hidden_block_count_z
      - .offset:         92
        .size:           2
        .value_kind:     hidden_group_size_x
      - .offset:         94
        .size:           2
        .value_kind:     hidden_group_size_y
      - .offset:         96
        .size:           2
        .value_kind:     hidden_group_size_z
      - .offset:         98
        .size:           2
        .value_kind:     hidden_remainder_x
      - .offset:         100
        .size:           2
        .value_kind:     hidden_remainder_y
      - .offset:         102
        .size:           2
        .value_kind:     hidden_remainder_z
      - .offset:         120
        .size:           8
        .value_kind:     hidden_global_offset_x
      - .offset:         128
        .size:           8
        .value_kind:     hidden_global_offset_y
      - .offset:         136
        .size:           8
        .value_kind:     hidden_global_offset_z
      - .offset:         144
        .size:           2
        .value_kind:     hidden_grid_dims
    .group_segment_fixed_size: 0
    .kernarg_segment_align: 8
    .kernarg_segment_size: 336
    .language:       OpenCL C
    .language_version:
      - 2
      - 0
    .max_flat_workgroup_size: 128
    .name:           _ZL33flash_attn_stream_k_fixup_generalILi128ELi1ELi8EEvPfPK15HIP_vector_typeIfLj2EEiiiiS1_IjLj3EES5_S5_S5_
    .private_segment_fixed_size: 0
    .sgpr_count:     48
    .sgpr_spill_count: 0
    .symbol:         _ZL33flash_attn_stream_k_fixup_generalILi128ELi1ELi8EEvPfPK15HIP_vector_typeIfLj2EEiiiiS1_IjLj3EES5_S5_S5_.kd
    .uniform_work_group_size: 1
    .uses_dynamic_stack: false
    .vgpr_count:     12
    .vgpr_spill_count: 0
    .wavefront_size: 32
  - .args:
      - .address_space:  global
        .offset:         0
        .size:           8
        .value_kind:     global_buffer
      - .address_space:  global
        .offset:         8
        .size:           8
        .value_kind:     global_buffer
      - .address_space:  global
        .offset:         16
        .size:           8
        .value_kind:     global_buffer
      - .address_space:  global
        .offset:         24
        .size:           8
        .value_kind:     global_buffer
      - .address_space:  global
        .offset:         32
        .size:           8
        .value_kind:     global_buffer
      - .address_space:  global
        .offset:         40
        .size:           8
        .value_kind:     global_buffer
      - .address_space:  global
        .offset:         48
        .size:           8
        .value_kind:     global_buffer
      - .address_space:  global
        .offset:         56
        .size:           8
        .value_kind:     global_buffer
      - .offset:         64
        .size:           4
        .value_kind:     by_value
      - .offset:         68
        .size:           4
        .value_kind:     by_value
      - .offset:         72
        .size:           4
        .value_kind:     by_value
      - .offset:         76
        .size:           4
        .value_kind:     by_value
      - .offset:         80
        .size:           4
        .value_kind:     by_value
      - .offset:         84
        .size:           4
        .value_kind:     by_value
      - .offset:         88
        .size:           4
        .value_kind:     by_value
      - .offset:         92
        .size:           12
        .value_kind:     by_value
      - .offset:         104
        .size:           4
        .value_kind:     by_value
      - .offset:         108
        .size:           4
        .value_kind:     by_value
      - .offset:         112
        .size:           4
        .value_kind:     by_value
      - .offset:         116
        .size:           4
        .value_kind:     by_value
      - .offset:         120
        .size:           4
        .value_kind:     by_value
      - .offset:         124
        .size:           4
        .value_kind:     by_value
      - .offset:         128
        .size:           4
        .value_kind:     by_value
      - .offset:         132
        .size:           4
        .value_kind:     by_value
      - .offset:         136
        .size:           4
        .value_kind:     by_value
      - .offset:         140
        .size:           4
        .value_kind:     by_value
      - .offset:         144
        .size:           4
        .value_kind:     by_value
      - .offset:         152
        .size:           8
        .value_kind:     by_value
      - .offset:         160
        .size:           4
        .value_kind:     by_value
      - .offset:         164
        .size:           4
        .value_kind:     by_value
      - .offset:         168
        .size:           8
        .value_kind:     by_value
      - .offset:         176
        .size:           4
        .value_kind:     by_value
      - .offset:         180
        .size:           4
        .value_kind:     by_value
      - .offset:         184
        .size:           4
        .value_kind:     by_value
      - .offset:         188
        .size:           4
        .value_kind:     by_value
      - .offset:         192
        .size:           4
        .value_kind:     by_value
      - .offset:         200
        .size:           8
        .value_kind:     by_value
      - .offset:         208
        .size:           4
        .value_kind:     hidden_block_count_x
      - .offset:         212
        .size:           4
        .value_kind:     hidden_block_count_y
      - .offset:         216
        .size:           4
        .value_kind:     hidden_block_count_z
      - .offset:         220
        .size:           2
        .value_kind:     hidden_group_size_x
      - .offset:         222
        .size:           2
        .value_kind:     hidden_group_size_y
      - .offset:         224
        .size:           2
        .value_kind:     hidden_group_size_z
      - .offset:         226
        .size:           2
        .value_kind:     hidden_remainder_x
      - .offset:         228
        .size:           2
        .value_kind:     hidden_remainder_y
      - .offset:         230
        .size:           2
        .value_kind:     hidden_remainder_z
      - .offset:         248
        .size:           8
        .value_kind:     hidden_global_offset_x
      - .offset:         256
        .size:           8
        .value_kind:     hidden_global_offset_y
      - .offset:         264
        .size:           8
        .value_kind:     hidden_global_offset_z
      - .offset:         272
        .size:           2
        .value_kind:     hidden_grid_dims
    .group_segment_fixed_size: 25600
    .kernarg_segment_align: 8
    .kernarg_segment_size: 464
    .language:       OpenCL C
    .language_version:
      - 2
      - 0
    .max_flat_workgroup_size: 256
    .name:           _ZL15flash_attn_tileILi192ELi128ELi2ELi16ELb1EEvPKcS1_S1_S1_S1_PKiPfP15HIP_vector_typeIfLj2EEffffjfiS5_IjLj3EEiiiiiiiiiiiliiliiiiil
    .private_segment_fixed_size: 0
    .sgpr_count:     45
    .sgpr_spill_count: 0
    .symbol:         _ZL15flash_attn_tileILi192ELi128ELi2ELi16ELb1EEvPKcS1_S1_S1_S1_PKiPfP15HIP_vector_typeIfLj2EEffffjfiS5_IjLj3EEiiiiiiiiiiiliiliiiiil.kd
    .uniform_work_group_size: 1
    .uses_dynamic_stack: false
    .vgpr_count:     132
    .vgpr_spill_count: 0
    .wavefront_size: 32
  - .args:
      - .address_space:  global
        .offset:         0
        .size:           8
        .value_kind:     global_buffer
      - .address_space:  global
        .offset:         8
        .size:           8
        .value_kind:     global_buffer
      - .address_space:  global
        .offset:         16
        .size:           8
        .value_kind:     global_buffer
      - .address_space:  global
        .offset:         24
        .size:           8
        .value_kind:     global_buffer
      - .address_space:  global
        .offset:         32
        .size:           8
        .value_kind:     global_buffer
      - .address_space:  global
        .offset:         40
        .size:           8
        .value_kind:     global_buffer
      - .address_space:  global
        .offset:         48
        .size:           8
        .value_kind:     global_buffer
      - .address_space:  global
        .offset:         56
        .size:           8
        .value_kind:     global_buffer
      - .offset:         64
        .size:           4
        .value_kind:     by_value
      - .offset:         68
        .size:           4
        .value_kind:     by_value
      - .offset:         72
        .size:           4
        .value_kind:     by_value
      - .offset:         76
        .size:           4
        .value_kind:     by_value
      - .offset:         80
        .size:           4
        .value_kind:     by_value
      - .offset:         84
        .size:           4
        .value_kind:     by_value
      - .offset:         88
        .size:           4
        .value_kind:     by_value
      - .offset:         92
        .size:           12
        .value_kind:     by_value
      - .offset:         104
        .size:           4
        .value_kind:     by_value
      - .offset:         108
        .size:           4
        .value_kind:     by_value
      - .offset:         112
        .size:           4
        .value_kind:     by_value
      - .offset:         116
        .size:           4
        .value_kind:     by_value
      - .offset:         120
        .size:           4
        .value_kind:     by_value
      - .offset:         124
        .size:           4
        .value_kind:     by_value
      - .offset:         128
        .size:           4
        .value_kind:     by_value
      - .offset:         132
        .size:           4
        .value_kind:     by_value
      - .offset:         136
        .size:           4
        .value_kind:     by_value
      - .offset:         140
        .size:           4
        .value_kind:     by_value
      - .offset:         144
        .size:           4
        .value_kind:     by_value
      - .offset:         152
        .size:           8
        .value_kind:     by_value
      - .offset:         160
        .size:           4
        .value_kind:     by_value
      - .offset:         164
        .size:           4
        .value_kind:     by_value
      - .offset:         168
        .size:           8
        .value_kind:     by_value
      - .offset:         176
        .size:           4
        .value_kind:     by_value
      - .offset:         180
        .size:           4
        .value_kind:     by_value
      - .offset:         184
        .size:           4
        .value_kind:     by_value
      - .offset:         188
        .size:           4
        .value_kind:     by_value
      - .offset:         192
        .size:           4
        .value_kind:     by_value
      - .offset:         200
        .size:           8
        .value_kind:     by_value
      - .offset:         208
        .size:           4
        .value_kind:     hidden_block_count_x
      - .offset:         212
        .size:           4
        .value_kind:     hidden_block_count_y
      - .offset:         216
        .size:           4
        .value_kind:     hidden_block_count_z
      - .offset:         220
        .size:           2
        .value_kind:     hidden_group_size_x
      - .offset:         222
        .size:           2
        .value_kind:     hidden_group_size_y
      - .offset:         224
        .size:           2
        .value_kind:     hidden_group_size_z
      - .offset:         226
        .size:           2
        .value_kind:     hidden_remainder_x
      - .offset:         228
        .size:           2
        .value_kind:     hidden_remainder_y
      - .offset:         230
        .size:           2
        .value_kind:     hidden_remainder_z
      - .offset:         248
        .size:           8
        .value_kind:     hidden_global_offset_x
      - .offset:         256
        .size:           8
        .value_kind:     hidden_global_offset_y
      - .offset:         264
        .size:           8
        .value_kind:     hidden_global_offset_z
      - .offset:         272
        .size:           2
        .value_kind:     hidden_grid_dims
    .group_segment_fixed_size: 11776
    .kernarg_segment_align: 8
    .kernarg_segment_size: 464
    .language:       OpenCL C
    .language_version:
      - 2
      - 0
    .max_flat_workgroup_size: 256
    .name:           _ZL15flash_attn_tileILi192ELi128ELi1ELi16ELb1EEvPKcS1_S1_S1_S1_PKiPfP15HIP_vector_typeIfLj2EEffffjfiS5_IjLj3EEiiiiiiiiiiiliiliiiiil
    .private_segment_fixed_size: 0
    .sgpr_count:     45
    .sgpr_spill_count: 0
    .symbol:         _ZL15flash_attn_tileILi192ELi128ELi1ELi16ELb1EEvPKcS1_S1_S1_S1_PKiPfP15HIP_vector_typeIfLj2EEffffjfiS5_IjLj3EEiiiiiiiiiiiliiliiiiil.kd
    .uniform_work_group_size: 1
    .uses_dynamic_stack: false
    .vgpr_count:     98
    .vgpr_spill_count: 0
    .wavefront_size: 32
  - .args:
      - .address_space:  global
        .offset:         0
        .size:           8
        .value_kind:     global_buffer
      - .address_space:  global
        .offset:         8
        .size:           8
        .value_kind:     global_buffer
      - .address_space:  global
        .offset:         16
        .size:           8
        .value_kind:     global_buffer
      - .address_space:  global
        .offset:         24
        .size:           8
        .value_kind:     global_buffer
      - .address_space:  global
        .offset:         32
        .size:           8
        .value_kind:     global_buffer
      - .address_space:  global
        .offset:         40
        .size:           8
        .value_kind:     global_buffer
      - .address_space:  global
        .offset:         48
        .size:           8
        .value_kind:     global_buffer
      - .address_space:  global
        .offset:         56
        .size:           8
        .value_kind:     global_buffer
      - .offset:         64
        .size:           4
        .value_kind:     by_value
      - .offset:         68
        .size:           4
        .value_kind:     by_value
      - .offset:         72
        .size:           4
        .value_kind:     by_value
      - .offset:         76
        .size:           4
        .value_kind:     by_value
      - .offset:         80
        .size:           4
        .value_kind:     by_value
      - .offset:         84
        .size:           4
        .value_kind:     by_value
      - .offset:         88
        .size:           4
        .value_kind:     by_value
      - .offset:         92
        .size:           12
        .value_kind:     by_value
      - .offset:         104
        .size:           4
        .value_kind:     by_value
      - .offset:         108
        .size:           4
        .value_kind:     by_value
      - .offset:         112
        .size:           4
        .value_kind:     by_value
      - .offset:         116
        .size:           4
        .value_kind:     by_value
      - .offset:         120
        .size:           4
        .value_kind:     by_value
      - .offset:         124
        .size:           4
        .value_kind:     by_value
      - .offset:         128
        .size:           4
        .value_kind:     by_value
      - .offset:         132
        .size:           4
        .value_kind:     by_value
      - .offset:         136
        .size:           4
        .value_kind:     by_value
      - .offset:         140
        .size:           4
        .value_kind:     by_value
      - .offset:         144
        .size:           4
        .value_kind:     by_value
      - .offset:         152
        .size:           8
        .value_kind:     by_value
      - .offset:         160
        .size:           4
        .value_kind:     by_value
      - .offset:         164
        .size:           4
        .value_kind:     by_value
      - .offset:         168
        .size:           8
        .value_kind:     by_value
      - .offset:         176
        .size:           4
        .value_kind:     by_value
      - .offset:         180
        .size:           4
        .value_kind:     by_value
      - .offset:         184
        .size:           4
        .value_kind:     by_value
      - .offset:         188
        .size:           4
        .value_kind:     by_value
      - .offset:         192
        .size:           4
        .value_kind:     by_value
      - .offset:         200
        .size:           8
        .value_kind:     by_value
      - .offset:         208
        .size:           4
        .value_kind:     hidden_block_count_x
      - .offset:         212
        .size:           4
        .value_kind:     hidden_block_count_y
      - .offset:         216
        .size:           4
        .value_kind:     hidden_block_count_z
      - .offset:         220
        .size:           2
        .value_kind:     hidden_group_size_x
      - .offset:         222
        .size:           2
        .value_kind:     hidden_group_size_y
      - .offset:         224
        .size:           2
        .value_kind:     hidden_group_size_z
      - .offset:         226
        .size:           2
        .value_kind:     hidden_remainder_x
      - .offset:         228
        .size:           2
        .value_kind:     hidden_remainder_y
      - .offset:         230
        .size:           2
        .value_kind:     hidden_remainder_z
      - .offset:         248
        .size:           8
        .value_kind:     hidden_global_offset_x
      - .offset:         256
        .size:           8
        .value_kind:     hidden_global_offset_y
      - .offset:         264
        .size:           8
        .value_kind:     hidden_global_offset_z
      - .offset:         272
        .size:           2
        .value_kind:     hidden_grid_dims
    .group_segment_fixed_size: 25600
    .kernarg_segment_align: 8
    .kernarg_segment_size: 464
    .language:       OpenCL C
    .language_version:
      - 2
      - 0
    .max_flat_workgroup_size: 256
    .name:           _ZL15flash_attn_tileILi192ELi128ELi4ELi8ELb1EEvPKcS1_S1_S1_S1_PKiPfP15HIP_vector_typeIfLj2EEffffjfiS5_IjLj3EEiiiiiiiiiiiliiliiiiil
    .private_segment_fixed_size: 0
    .sgpr_count:     45
    .sgpr_spill_count: 0
    .symbol:         _ZL15flash_attn_tileILi192ELi128ELi4ELi8ELb1EEvPKcS1_S1_S1_S1_PKiPfP15HIP_vector_typeIfLj2EEffffjfiS5_IjLj3EEiiiiiiiiiiiliiliiiiil.kd
    .uniform_work_group_size: 1
    .uses_dynamic_stack: false
    .vgpr_count:     132
    .vgpr_spill_count: 0
    .wavefront_size: 32
  - .args:
      - .address_space:  global
        .offset:         0
        .size:           8
        .value_kind:     global_buffer
      - .address_space:  global
        .offset:         8
        .size:           8
        .value_kind:     global_buffer
      - .address_space:  global
        .offset:         16
        .size:           8
        .value_kind:     global_buffer
      - .address_space:  global
        .offset:         24
        .size:           8
        .value_kind:     global_buffer
      - .address_space:  global
        .offset:         32
        .size:           8
        .value_kind:     global_buffer
      - .address_space:  global
        .offset:         40
        .size:           8
        .value_kind:     global_buffer
      - .address_space:  global
        .offset:         48
        .size:           8
        .value_kind:     global_buffer
      - .address_space:  global
        .offset:         56
        .size:           8
        .value_kind:     global_buffer
      - .offset:         64
        .size:           4
        .value_kind:     by_value
      - .offset:         68
        .size:           4
        .value_kind:     by_value
      - .offset:         72
        .size:           4
        .value_kind:     by_value
      - .offset:         76
        .size:           4
        .value_kind:     by_value
      - .offset:         80
        .size:           4
        .value_kind:     by_value
      - .offset:         84
        .size:           4
        .value_kind:     by_value
      - .offset:         88
        .size:           4
        .value_kind:     by_value
      - .offset:         92
        .size:           12
        .value_kind:     by_value
      - .offset:         104
        .size:           4
        .value_kind:     by_value
      - .offset:         108
        .size:           4
        .value_kind:     by_value
      - .offset:         112
        .size:           4
        .value_kind:     by_value
      - .offset:         116
        .size:           4
        .value_kind:     by_value
      - .offset:         120
        .size:           4
        .value_kind:     by_value
      - .offset:         124
        .size:           4
        .value_kind:     by_value
      - .offset:         128
        .size:           4
        .value_kind:     by_value
      - .offset:         132
        .size:           4
        .value_kind:     by_value
      - .offset:         136
        .size:           4
        .value_kind:     by_value
      - .offset:         140
        .size:           4
        .value_kind:     by_value
      - .offset:         144
        .size:           4
        .value_kind:     by_value
      - .offset:         152
        .size:           8
        .value_kind:     by_value
      - .offset:         160
        .size:           4
        .value_kind:     by_value
      - .offset:         164
        .size:           4
        .value_kind:     by_value
      - .offset:         168
        .size:           8
        .value_kind:     by_value
      - .offset:         176
        .size:           4
        .value_kind:     by_value
      - .offset:         180
        .size:           4
        .value_kind:     by_value
      - .offset:         184
        .size:           4
        .value_kind:     by_value
      - .offset:         188
        .size:           4
        .value_kind:     by_value
      - .offset:         192
        .size:           4
        .value_kind:     by_value
      - .offset:         200
        .size:           8
        .value_kind:     by_value
      - .offset:         208
        .size:           4
        .value_kind:     hidden_block_count_x
      - .offset:         212
        .size:           4
        .value_kind:     hidden_block_count_y
      - .offset:         216
        .size:           4
        .value_kind:     hidden_block_count_z
      - .offset:         220
        .size:           2
        .value_kind:     hidden_group_size_x
      - .offset:         222
        .size:           2
        .value_kind:     hidden_group_size_y
      - .offset:         224
        .size:           2
        .value_kind:     hidden_group_size_z
      - .offset:         226
        .size:           2
        .value_kind:     hidden_remainder_x
      - .offset:         228
        .size:           2
        .value_kind:     hidden_remainder_y
      - .offset:         230
        .size:           2
        .value_kind:     hidden_remainder_z
      - .offset:         248
        .size:           8
        .value_kind:     hidden_global_offset_x
      - .offset:         256
        .size:           8
        .value_kind:     hidden_global_offset_y
      - .offset:         264
        .size:           8
        .value_kind:     hidden_global_offset_z
      - .offset:         272
        .size:           2
        .value_kind:     hidden_grid_dims
    .group_segment_fixed_size: 11776
    .kernarg_segment_align: 8
    .kernarg_segment_size: 464
    .language:       OpenCL C
    .language_version:
      - 2
      - 0
    .max_flat_workgroup_size: 256
    .name:           _ZL15flash_attn_tileILi192ELi128ELi2ELi8ELb1EEvPKcS1_S1_S1_S1_PKiPfP15HIP_vector_typeIfLj2EEffffjfiS5_IjLj3EEiiiiiiiiiiiliiliiiiil
    .private_segment_fixed_size: 0
    .sgpr_count:     45
    .sgpr_spill_count: 0
    .symbol:         _ZL15flash_attn_tileILi192ELi128ELi2ELi8ELb1EEvPKcS1_S1_S1_S1_PKiPfP15HIP_vector_typeIfLj2EEffffjfiS5_IjLj3EEiiiiiiiiiiiliiliiiiil.kd
    .uniform_work_group_size: 1
    .uses_dynamic_stack: false
    .vgpr_count:     98
    .vgpr_spill_count: 0
    .wavefront_size: 32
  - .args:
      - .address_space:  global
        .offset:         0
        .size:           8
        .value_kind:     global_buffer
      - .address_space:  global
        .offset:         8
        .size:           8
        .value_kind:     global_buffer
      - .address_space:  global
        .offset:         16
        .size:           8
        .value_kind:     global_buffer
      - .address_space:  global
        .offset:         24
        .size:           8
        .value_kind:     global_buffer
      - .address_space:  global
        .offset:         32
        .size:           8
        .value_kind:     global_buffer
      - .address_space:  global
        .offset:         40
        .size:           8
        .value_kind:     global_buffer
      - .address_space:  global
        .offset:         48
        .size:           8
        .value_kind:     global_buffer
      - .address_space:  global
        .offset:         56
        .size:           8
        .value_kind:     global_buffer
      - .offset:         64
        .size:           4
        .value_kind:     by_value
      - .offset:         68
        .size:           4
        .value_kind:     by_value
      - .offset:         72
        .size:           4
        .value_kind:     by_value
      - .offset:         76
        .size:           4
        .value_kind:     by_value
      - .offset:         80
        .size:           4
        .value_kind:     by_value
      - .offset:         84
        .size:           4
        .value_kind:     by_value
      - .offset:         88
        .size:           4
        .value_kind:     by_value
      - .offset:         92
        .size:           12
        .value_kind:     by_value
      - .offset:         104
        .size:           4
        .value_kind:     by_value
      - .offset:         108
        .size:           4
        .value_kind:     by_value
      - .offset:         112
        .size:           4
        .value_kind:     by_value
      - .offset:         116
        .size:           4
        .value_kind:     by_value
      - .offset:         120
        .size:           4
        .value_kind:     by_value
      - .offset:         124
        .size:           4
        .value_kind:     by_value
      - .offset:         128
        .size:           4
        .value_kind:     by_value
      - .offset:         132
        .size:           4
        .value_kind:     by_value
      - .offset:         136
        .size:           4
        .value_kind:     by_value
      - .offset:         140
        .size:           4
        .value_kind:     by_value
      - .offset:         144
        .size:           4
        .value_kind:     by_value
      - .offset:         152
        .size:           8
        .value_kind:     by_value
      - .offset:         160
        .size:           4
        .value_kind:     by_value
      - .offset:         164
        .size:           4
        .value_kind:     by_value
      - .offset:         168
        .size:           8
        .value_kind:     by_value
      - .offset:         176
        .size:           4
        .value_kind:     by_value
      - .offset:         180
        .size:           4
        .value_kind:     by_value
      - .offset:         184
        .size:           4
        .value_kind:     by_value
      - .offset:         188
        .size:           4
        .value_kind:     by_value
      - .offset:         192
        .size:           4
        .value_kind:     by_value
      - .offset:         200
        .size:           8
        .value_kind:     by_value
      - .offset:         208
        .size:           4
        .value_kind:     hidden_block_count_x
      - .offset:         212
        .size:           4
        .value_kind:     hidden_block_count_y
      - .offset:         216
        .size:           4
        .value_kind:     hidden_block_count_z
      - .offset:         220
        .size:           2
        .value_kind:     hidden_group_size_x
      - .offset:         222
        .size:           2
        .value_kind:     hidden_group_size_y
      - .offset:         224
        .size:           2
        .value_kind:     hidden_group_size_z
      - .offset:         226
        .size:           2
        .value_kind:     hidden_remainder_x
      - .offset:         228
        .size:           2
        .value_kind:     hidden_remainder_y
      - .offset:         230
        .size:           2
        .value_kind:     hidden_remainder_z
      - .offset:         248
        .size:           8
        .value_kind:     hidden_global_offset_x
      - .offset:         256
        .size:           8
        .value_kind:     hidden_global_offset_y
      - .offset:         264
        .size:           8
        .value_kind:     hidden_global_offset_z
      - .offset:         272
        .size:           2
        .value_kind:     hidden_grid_dims
    .group_segment_fixed_size: 8192
    .kernarg_segment_align: 8
    .kernarg_segment_size: 464
    .language:       OpenCL C
    .language_version:
      - 2
      - 0
    .max_flat_workgroup_size: 128
    .name:           _ZL15flash_attn_tileILi192ELi128ELi1ELi8ELb1EEvPKcS1_S1_S1_S1_PKiPfP15HIP_vector_typeIfLj2EEffffjfiS5_IjLj3EEiiiiiiiiiiiliiliiiiil
    .private_segment_fixed_size: 0
    .sgpr_count:     45
    .sgpr_spill_count: 0
    .symbol:         _ZL15flash_attn_tileILi192ELi128ELi1ELi8ELb1EEvPKcS1_S1_S1_S1_PKiPfP15HIP_vector_typeIfLj2EEffffjfiS5_IjLj3EEiiiiiiiiiiiliiliiiiil.kd
    .uniform_work_group_size: 1
    .uses_dynamic_stack: false
    .vgpr_count:     113
    .vgpr_spill_count: 0
    .wavefront_size: 32
amdhsa.target:   amdgcn-amd-amdhsa--gfx1250
amdhsa.version:
  - 1
  - 2
...

	.end_amdgpu_metadata
